;; amdgpu-corpus repo=ROCm/rocFFT kind=compiled arch=gfx906 opt=O3
	.text
	.amdgcn_target "amdgcn-amd-amdhsa--gfx906"
	.amdhsa_code_object_version 6
	.protected	bluestein_single_back_len1210_dim1_half_op_CI_CI ; -- Begin function bluestein_single_back_len1210_dim1_half_op_CI_CI
	.globl	bluestein_single_back_len1210_dim1_half_op_CI_CI
	.p2align	8
	.type	bluestein_single_back_len1210_dim1_half_op_CI_CI,@function
bluestein_single_back_len1210_dim1_half_op_CI_CI: ; @bluestein_single_back_len1210_dim1_half_op_CI_CI
; %bb.0:
	s_load_dwordx4 s[12:15], s[4:5], 0x28
	v_mul_u32_u24_e32 v1, 0x254, v0
	v_add_u32_sdwa v22, s6, v1 dst_sel:DWORD dst_unused:UNUSED_PAD src0_sel:DWORD src1_sel:WORD_1
	v_mov_b32_e32 v23, 0
	s_waitcnt lgkmcnt(0)
	v_cmp_gt_u64_e32 vcc, s[12:13], v[22:23]
	s_and_saveexec_b64 s[0:1], vcc
	s_cbranch_execz .LBB0_23
; %bb.1:
	s_load_dwordx4 s[0:3], s[4:5], 0x18
	s_load_dwordx2 s[16:17], s[4:5], 0x0
	s_waitcnt lgkmcnt(0)
	s_load_dwordx4 s[8:11], s[0:1], 0x0
	s_movk_i32 s0, 0x6e
	v_mul_lo_u16_sdwa v1, v1, s0 dst_sel:DWORD dst_unused:UNUSED_PAD src0_sel:WORD_1 src1_sel:DWORD
	v_sub_u16_e32 v50, v0, v1
	v_lshlrev_b32_e32 v41, 2, v50
	s_waitcnt lgkmcnt(0)
	v_mad_u64_u32 v[0:1], s[0:1], s10, v22, 0
	v_mad_u64_u32 v[2:3], s[0:1], s8, v50, 0
	v_add_co_u32_e64 v20, s[6:7], s16, v41
	v_mad_u64_u32 v[4:5], s[0:1], s11, v22, v[1:2]
	global_load_dword v52, v41, s[16:17]
	v_mad_u64_u32 v[5:6], s[0:1], s9, v50, v[3:4]
	v_mov_b32_e32 v1, v4
	v_lshlrev_b64 v[0:1], 2, v[0:1]
	v_mov_b32_e32 v6, s15
	v_mov_b32_e32 v3, v5
	v_add_co_u32_e32 v4, vcc, s14, v0
	v_addc_co_u32_e32 v5, vcc, v6, v1, vcc
	v_lshlrev_b64 v[0:1], 2, v[2:3]
	s_mul_i32 s0, s9, 0x25d
	s_mul_hi_u32 s1, s8, 0x25d
	v_add_co_u32_e32 v0, vcc, v4, v0
	v_mov_b32_e32 v2, s17
	s_add_i32 s1, s1, s0
	s_mul_i32 s0, s8, 0x25d
	v_addc_co_u32_e32 v1, vcc, v5, v1, vcc
	v_addc_co_u32_e64 v21, vcc, 0, v2, s[6:7]
	s_lshl_b64 s[14:15], s[0:1], 2
	v_mov_b32_e32 v4, s15
	v_add_co_u32_e32 v2, vcc, s14, v0
	v_addc_co_u32_e32 v3, vcc, v1, v4, vcc
	global_load_dword v5, v[0:1], off
	global_load_dword v6, v[2:3], off
	global_load_dword v51, v41, s[16:17] offset:2420
	s_mul_hi_u32 s1, s8, 0xfffffe11
	s_mul_i32 s0, s9, 0xfffffe11
	s_sub_i32 s1, s1, s8
	s_add_i32 s1, s1, s0
	s_mul_i32 s0, s8, 0xfffffe11
	s_lshl_b64 s[18:19], s[0:1], 2
	v_mov_b32_e32 v7, s19
	v_add_co_u32_e32 v0, vcc, s18, v2
	v_addc_co_u32_e32 v1, vcc, v3, v7, vcc
	global_load_dword v8, v[0:1], off
	global_load_dword v49, v41, s[16:17] offset:440
	v_add_co_u32_e32 v0, vcc, s14, v0
	v_addc_co_u32_e32 v1, vcc, v1, v4, vcc
	global_load_dword v9, v[0:1], off
	global_load_dword v48, v41, s[16:17] offset:2860
	;; [unrolled: 4-line block ×7, first 2 shown]
	v_add_co_u32_e32 v0, vcc, s14, v0
	v_addc_co_u32_e32 v1, vcc, v1, v4, vcc
	s_movk_i32 s0, 0x1000
	v_add_co_u32_e32 v2, vcc, s0, v20
	global_load_dword v4, v[0:1], off
	v_addc_co_u32_e32 v3, vcc, 0, v21, vcc
	global_load_dword v42, v[2:3], off offset:84
	s_load_dwordx2 s[12:13], s[4:5], 0x38
	s_load_dwordx4 s[8:11], s[2:3], 0x0
	v_cmp_gt_u16_e64 s[0:1], 55, v50
	s_waitcnt vmcnt(18)
	v_lshrrev_b32_e32 v2, 16, v5
	v_mul_f16_sdwa v3, v52, v2 dst_sel:DWORD dst_unused:UNUSED_PAD src0_sel:WORD_1 src1_sel:DWORD
	v_fma_f16 v3, v52, v5, v3
	v_mul_f16_sdwa v5, v52, v5 dst_sel:DWORD dst_unused:UNUSED_PAD src0_sel:WORD_1 src1_sel:DWORD
	v_fma_f16 v2, v52, v2, -v5
	v_pack_b32_f16 v2, v3, v2
	s_waitcnt vmcnt(17)
	v_lshrrev_b32_e32 v3, 16, v6
	s_waitcnt vmcnt(16)
	v_mul_f16_sdwa v5, v51, v3 dst_sel:DWORD dst_unused:UNUSED_PAD src0_sel:WORD_1 src1_sel:DWORD
	v_fma_f16 v5, v51, v6, v5
	v_mul_f16_sdwa v6, v51, v6 dst_sel:DWORD dst_unused:UNUSED_PAD src0_sel:WORD_1 src1_sel:DWORD
	v_fma_f16 v3, v51, v3, -v6
	v_pack_b32_f16 v3, v5, v3
	ds_write_b32 v41, v3 offset:2420
	s_waitcnt vmcnt(15)
	v_lshrrev_b32_e32 v3, 16, v8
	s_waitcnt vmcnt(14)
	v_mul_f16_sdwa v5, v49, v3 dst_sel:DWORD dst_unused:UNUSED_PAD src0_sel:WORD_1 src1_sel:DWORD
	v_mul_f16_sdwa v6, v49, v8 dst_sel:DWORD dst_unused:UNUSED_PAD src0_sel:WORD_1 src1_sel:DWORD
	v_fma_f16 v5, v49, v8, v5
	v_fma_f16 v3, v49, v3, -v6
	v_pack_b32_f16 v3, v5, v3
	ds_write2_b32 v41, v2, v3 offset1:110
	s_waitcnt vmcnt(13)
	v_lshrrev_b32_e32 v2, 16, v9
	s_waitcnt vmcnt(12)
	v_mul_f16_sdwa v3, v48, v2 dst_sel:DWORD dst_unused:UNUSED_PAD src0_sel:WORD_1 src1_sel:DWORD
	v_mul_f16_sdwa v5, v48, v9 dst_sel:DWORD dst_unused:UNUSED_PAD src0_sel:WORD_1 src1_sel:DWORD
	v_fma_f16 v3, v48, v9, v3
	v_fma_f16 v2, v48, v2, -v5
	v_pack_b32_f16 v3, v3, v2
	s_waitcnt vmcnt(11)
	v_lshrrev_b32_e32 v2, 16, v10
	s_waitcnt vmcnt(10)
	v_mul_f16_sdwa v5, v47, v2 dst_sel:DWORD dst_unused:UNUSED_PAD src0_sel:WORD_1 src1_sel:DWORD
	v_mul_f16_sdwa v6, v47, v10 dst_sel:DWORD dst_unused:UNUSED_PAD src0_sel:WORD_1 src1_sel:DWORD
	v_fma_f16 v5, v47, v10, v5
	v_fma_f16 v2, v47, v2, -v6
	v_pack_b32_f16 v5, v5, v2
	;; [unrolled: 8-line block ×3, first 2 shown]
	v_add_u32_e32 v2, 0xa00, v41
	ds_write2_b32 v2, v3, v6 offset0:75 offset1:185
	s_waitcnt vmcnt(7)
	v_lshrrev_b32_e32 v3, 16, v12
	s_waitcnt vmcnt(6)
	v_mul_f16_sdwa v6, v45, v3 dst_sel:DWORD dst_unused:UNUSED_PAD src0_sel:WORD_1 src1_sel:DWORD
	v_mul_f16_sdwa v8, v45, v12 dst_sel:DWORD dst_unused:UNUSED_PAD src0_sel:WORD_1 src1_sel:DWORD
	v_fma_f16 v6, v45, v12, v6
	v_fma_f16 v3, v45, v3, -v8
	v_pack_b32_f16 v6, v6, v3
	v_add_u32_e32 v3, 0x200, v41
	ds_write2_b32 v3, v5, v6 offset0:92 offset1:202
	s_waitcnt vmcnt(5)
	v_lshrrev_b32_e32 v5, 16, v13
	s_waitcnt vmcnt(4)
	v_mul_f16_sdwa v6, v44, v5 dst_sel:DWORD dst_unused:UNUSED_PAD src0_sel:WORD_1 src1_sel:DWORD
	v_mul_f16_sdwa v8, v44, v13 dst_sel:DWORD dst_unused:UNUSED_PAD src0_sel:WORD_1 src1_sel:DWORD
	v_fma_f16 v6, v44, v13, v6
	v_fma_f16 v5, v44, v5, -v8
	v_pack_b32_f16 v5, v6, v5
	s_waitcnt vmcnt(3)
	v_lshrrev_b32_e32 v6, 16, v7
	s_waitcnt vmcnt(2)
	v_mul_f16_sdwa v8, v43, v6 dst_sel:DWORD dst_unused:UNUSED_PAD src0_sel:WORD_1 src1_sel:DWORD
	v_fma_f16 v8, v43, v7, v8
	v_mul_f16_sdwa v7, v43, v7 dst_sel:DWORD dst_unused:UNUSED_PAD src0_sel:WORD_1 src1_sel:DWORD
	v_fma_f16 v6, v43, v6, -v7
	v_pack_b32_f16 v6, v8, v6
	ds_write_b32 v41, v6 offset:1760
	s_waitcnt vmcnt(1)
	v_lshrrev_b32_e32 v6, 16, v4
	s_waitcnt vmcnt(0)
	v_mul_f16_sdwa v7, v42, v6 dst_sel:DWORD dst_unused:UNUSED_PAD src0_sel:WORD_1 src1_sel:DWORD
	v_fma_f16 v7, v42, v4, v7
	v_mul_f16_sdwa v4, v42, v4 dst_sel:DWORD dst_unused:UNUSED_PAD src0_sel:WORD_1 src1_sel:DWORD
	v_fma_f16 v4, v42, v6, -v4
	v_pack_b32_f16 v4, v7, v4
	v_add_u32_e32 v8, 0xe00, v41
	ds_write2_b32 v8, v5, v4 offset0:39 offset1:149
	s_and_saveexec_b64 s[2:3], s[0:1]
	s_cbranch_execz .LBB0_3
; %bb.2:
	v_mov_b32_e32 v4, s19
	v_add_co_u32_e32 v0, vcc, s18, v0
	v_addc_co_u32_e32 v1, vcc, v1, v4, vcc
	global_load_dword v4, v[0:1], off
	global_load_dword v5, v[20:21], off offset:2200
	v_mov_b32_e32 v6, s15
	v_add_co_u32_e32 v0, vcc, s14, v0
	v_addc_co_u32_e32 v1, vcc, v1, v6, vcc
	global_load_dword v6, v[0:1], off
	v_add_co_u32_e32 v0, vcc, 0x1000, v20
	v_addc_co_u32_e32 v1, vcc, 0, v21, vcc
	global_load_dword v0, v[0:1], off offset:524
	s_waitcnt vmcnt(3)
	v_lshrrev_b32_e32 v1, 16, v4
	s_waitcnt vmcnt(2)
	v_mul_f16_sdwa v7, v5, v4 dst_sel:DWORD dst_unused:UNUSED_PAD src0_sel:WORD_1 src1_sel:DWORD
	v_mul_f16_sdwa v9, v5, v1 dst_sel:DWORD dst_unused:UNUSED_PAD src0_sel:WORD_1 src1_sel:DWORD
	v_fma_f16 v1, v5, v1, -v7
	v_fma_f16 v4, v5, v4, v9
	v_pack_b32_f16 v1, v4, v1
	ds_write_b32 v41, v1 offset:2200
	s_waitcnt vmcnt(1)
	v_lshrrev_b32_e32 v7, 16, v6
	s_waitcnt vmcnt(0)
	v_mul_f16_sdwa v10, v0, v6 dst_sel:DWORD dst_unused:UNUSED_PAD src0_sel:WORD_1 src1_sel:DWORD
	v_mul_f16_sdwa v5, v0, v7 dst_sel:DWORD dst_unused:UNUSED_PAD src0_sel:WORD_1 src1_sel:DWORD
	v_fma_f16 v7, v0, v7, -v10
	v_fma_f16 v0, v0, v6, v5
	v_pack_b32_f16 v0, v0, v7
	ds_write_b32 v41, v0 offset:4620
.LBB0_3:
	s_or_b64 exec, exec, s[2:3]
	v_add_u32_e32 v0, 0x600, v41
	s_waitcnt lgkmcnt(0)
	s_barrier
	ds_read2_b32 v[6:7], v41 offset1:110
	ds_read2_b32 v[0:1], v0 offset0:56 offset1:221
	ds_read2_b32 v[4:5], v2 offset0:75 offset1:185
	;; [unrolled: 1-line block ×4, first 2 shown]
                                        ; implicit-def: $vgpr10
                                        ; implicit-def: $vgpr11
	s_and_saveexec_b64 s[2:3], s[0:1]
	s_cbranch_execz .LBB0_5
; %bb.4:
	ds_read_b32 v10, v41 offset:2200
	ds_read_b32 v11, v41 offset:4620
.LBB0_5:
	s_or_b64 exec, exec, s[2:3]
	s_load_dwordx2 s[4:5], s[4:5], 0x8
	s_movk_i32 s2, 0xdc
	s_waitcnt lgkmcnt(0)
	v_pk_add_f16 v12, v6, v1 neg_lo:[0,1] neg_hi:[0,1]
	v_pk_add_f16 v1, v0, v9 neg_lo:[0,1] neg_hi:[0,1]
	v_lshlrev_b16_e32 v9, 1, v50
	v_add_co_u32_e32 v19, vcc, 0x6e, v50
	v_add_co_u32_e32 v18, vcc, s2, v50
	s_movk_i32 s2, 0x226
	v_pk_add_f16 v13, v7, v4 neg_lo:[0,1] neg_hi:[0,1]
	v_pk_add_f16 v14, v2, v5 neg_lo:[0,1] neg_hi:[0,1]
	;; [unrolled: 1-line block ×3, first 2 shown]
	v_lshlrev_b32_e32 v40, 2, v9
	v_pk_fma_f16 v11, v6, 2.0, v12 op_sel_hi:[1,0,1] neg_lo:[0,0,1] neg_hi:[0,0,1]
	v_lshlrev_b32_e32 v56, 3, v50
	v_add_co_u32_e32 v15, vcc, s2, v50
	v_pk_add_f16 v8, v3, v8 neg_lo:[0,1] neg_hi:[0,1]
	s_barrier
	ds_write_b64 v40, v[11:12]
	v_lshlrev_b32_e32 v54, 3, v19
	v_pk_fma_f16 v12, v7, 2.0, v13 op_sel_hi:[1,0,1] neg_lo:[0,0,1] neg_hi:[0,0,1]
	v_pk_fma_f16 v4, v10, 2.0, v5 op_sel_hi:[1,0,1] neg_lo:[0,0,1] neg_hi:[0,0,1]
	ds_write_b64 v54, v[12:13]
	v_lshlrev_b32_e32 v55, 3, v18
	v_pk_fma_f16 v13, v2, 2.0, v14 op_sel_hi:[1,0,1] neg_lo:[0,0,1] neg_hi:[0,0,1]
	v_pk_fma_f16 v7, v3, 2.0, v8 op_sel_hi:[1,0,1] neg_lo:[0,0,1] neg_hi:[0,0,1]
	;; [unrolled: 1-line block ×3, first 2 shown]
	v_add_u32_e32 v2, 0x800, v56
	v_lshlrev_b32_e32 v39, 3, v15
	ds_write_b64 v55, v[13:14]
	ds_write2_b64 v2, v[7:8], v[0:1] offset0:74 offset1:184
	s_and_saveexec_b64 s[2:3], s[0:1]
	s_cbranch_execz .LBB0_7
; %bb.6:
	ds_write_b64 v39, v[4:5]
.LBB0_7:
	s_or_b64 exec, exec, s[2:3]
	v_add_u32_e32 v0, 0x200, v41
	s_waitcnt lgkmcnt(0)
	s_barrier
	ds_read2_b32 v[14:15], v0 offset0:114 offset1:224
	v_add_u32_e32 v0, 0x600, v41
	ds_read2_b32 v[12:13], v0 offset0:100 offset1:210
	v_add_u32_e32 v0, 0xa00, v41
	;; [unrolled: 2-line block ×3, first 2 shown]
	ds_read2_b32 v[6:7], v41 offset1:110
	ds_read2_b32 v[8:9], v0 offset0:72 offset1:182
	v_cmp_gt_u16_e64 s[2:3], 22, v50
                                        ; implicit-def: $vgpr16
                                        ; implicit-def: $vgpr24
                                        ; implicit-def: $vgpr25
                                        ; implicit-def: $vgpr23
                                        ; implicit-def: $vgpr26
	s_and_saveexec_b64 s[14:15], s[2:3]
	s_cbranch_execz .LBB0_9
; %bb.8:
	v_add_u32_e32 v0, 0xb00, v41
	ds_read2_b32 v[16:17], v0 offset1:242
	v_add_u32_e32 v0, 0x340, v41
	ds_read_b32 v23, v41 offset:4752
	ds_read2_b32 v[4:5], v0 offset0:12 offset1:254
	s_waitcnt lgkmcnt(2)
	v_lshrrev_b32_e32 v24, 16, v16
	v_lshrrev_b32_e32 v25, 16, v17
	s_waitcnt lgkmcnt(1)
	v_lshrrev_b32_e32 v26, 16, v23
.LBB0_9:
	s_or_b64 exec, exec, s[14:15]
	v_and_b32_e32 v53, 1, v50
	v_lshlrev_b32_e32 v0, 4, v53
	global_load_dwordx4 v[0:3], v0, s[4:5]
	s_waitcnt lgkmcnt(4)
	v_lshrrev_b32_e32 v30, 16, v14
	s_waitcnt lgkmcnt(3)
	v_lshrrev_b32_e32 v31, 16, v12
	;; [unrolled: 2-line block ×3, first 2 shown]
	v_lshrrev_b32_e32 v32, 16, v10
	v_lshrrev_b32_e32 v33, 16, v8
	;; [unrolled: 1-line block ×3, first 2 shown]
	s_movk_i32 s14, 0x3b9c
	s_mov_b32 s18, 0xbb9c
	s_movk_i32 s15, 0x38b4
	s_mov_b32 s19, 0xb8b4
	s_movk_i32 s16, 0x34f2
	s_waitcnt vmcnt(0)
	s_barrier
	v_mul_f16_sdwa v28, v27, v0 dst_sel:DWORD dst_unused:UNUSED_PAD src0_sel:DWORD src1_sel:WORD_1
	v_mul_f16_sdwa v29, v5, v0 dst_sel:DWORD dst_unused:UNUSED_PAD src0_sel:DWORD src1_sel:WORD_1
	;; [unrolled: 1-line block ×15, first 2 shown]
	v_fma_f16 v27, v27, v0, v29
	v_fma_f16 v5, v5, v0, -v28
	v_fma_f16 v16, v16, v1, -v35
	;; [unrolled: 1-line block ×3, first 2 shown]
	v_fma_f16 v29, v25, v2, v38
	v_fma_f16 v25, v23, v3, -v57
	v_fma_f16 v14, v14, v0, -v59
	;; [unrolled: 1-line block ×5, first 2 shown]
	v_mul_f16_sdwa v58, v23, v3 dst_sel:DWORD dst_unused:UNUSED_PAD src0_sel:DWORD src1_sel:WORD_1
	v_fma_f16 v28, v24, v1, v36
	v_fma_f16 v30, v30, v0, v60
	;; [unrolled: 1-line block ×5, first 2 shown]
	v_sub_f16_e32 v24, v16, v5
	v_sub_f16_e32 v37, v17, v25
	;; [unrolled: 1-line block ×4, first 2 shown]
	v_add_f16_e32 v60, v6, v14
	v_fma_f16 v26, v26, v3, v58
	v_sub_f16_e32 v58, v30, v31
	v_sub_f16_e32 v59, v33, v32
	v_add_f16_e32 v62, v12, v10
	v_sub_f16_e32 v66, v14, v8
	v_sub_f16_e32 v67, v12, v10
	v_add_f16_e32 v24, v24, v37
	v_add_f16_e32 v37, v38, v57
	;; [unrolled: 1-line block ×3, first 2 shown]
	v_sub_f16_e32 v12, v12, v14
	v_add_f16_e32 v14, v14, v8
	v_add_f16_e32 v23, v5, v25
	;; [unrolled: 1-line block ×4, first 2 shown]
	v_sub_f16_e32 v65, v31, v32
	v_add_f16_e32 v38, v58, v59
	v_fma_f16 v59, v62, -0.5, v6
	v_add_f16_e32 v57, v57, v10
	v_fma_f16 v6, v14, -0.5, v6
	v_sub_f16_e32 v36, v28, v29
	v_sub_f16_e32 v64, v30, v33
	v_fma_f16 v23, v23, -0.5, v4
	v_add_f16_e32 v58, v61, v31
	v_fma_f16 v60, v63, -0.5, v34
	v_add_f16_e32 v57, v57, v8
	v_sub_f16_e32 v8, v10, v8
	v_fma_f16 v10, v65, s18, v6
	v_fma_f16 v6, v65, s14, v6
	v_sub_f16_e32 v35, v27, v26
	v_fma_f16 v61, v36, s18, v23
	v_add_f16_e32 v58, v58, v32
	v_fma_f16 v62, v64, s14, v59
	v_fma_f16 v63, v66, s18, v60
	v_add_f16_e32 v8, v12, v8
	v_fma_f16 v10, v64, s15, v10
	v_fma_f16 v6, v64, s19, v6
	v_fma_f16 v23, v36, s14, v23
	v_fma_f16 v61, v35, s15, v61
	v_add_f16_e32 v58, v58, v33
	v_fma_f16 v62, v65, s15, v62
	v_fma_f16 v63, v67, s19, v63
	;; [unrolled: 5-line block ×3, first 2 shown]
	v_pack_b32_f16 v58, v57, v58
	v_fma_f16 v57, v37, s16, v62
	v_fma_f16 v61, v38, s16, v63
	v_fma_f16 v8, v8, -0.5, v34
	v_sub_f16_e32 v12, v31, v30
	v_sub_f16_e32 v14, v32, v33
	v_pack_b32_f16 v61, v57, v61
	v_lshrrev_b32_e32 v57, 1, v50
	v_add_f16_e32 v12, v12, v14
	v_fma_f16 v14, v67, s14, v8
	v_fma_f16 v8, v67, s18, v8
	v_mul_u32_u24_e32 v57, 10, v57
	v_fma_f16 v14, v66, s19, v14
	v_fma_f16 v8, v66, s15, v8
	v_or_b32_e32 v57, v57, v53
	v_fma_f16 v14, v12, s16, v14
	v_fma_f16 v8, v12, s16, v8
	v_lshlrev_b32_e32 v57, 2, v57
	v_pack_b32_f16 v10, v10, v14
	v_pack_b32_f16 v6, v6, v8
	ds_write2_b32 v57, v10, v6 offset0:4 offset1:6
	v_lshrrev_b32_e32 v6, 16, v15
	v_mul_f16_sdwa v10, v15, v0 dst_sel:DWORD dst_unused:UNUSED_PAD src0_sel:DWORD src1_sel:WORD_1
	v_mul_f16_sdwa v8, v6, v0 dst_sel:DWORD dst_unused:UNUSED_PAD src0_sel:DWORD src1_sel:WORD_1
	v_fma_f16 v6, v6, v0, v10
	v_lshrrev_b32_e32 v10, 16, v13
	v_mul_f16_sdwa v12, v10, v1 dst_sel:DWORD dst_unused:UNUSED_PAD src0_sel:DWORD src1_sel:WORD_1
	v_fma_f16 v12, v13, v1, -v12
	v_mul_f16_sdwa v13, v13, v1 dst_sel:DWORD dst_unused:UNUSED_PAD src0_sel:DWORD src1_sel:WORD_1
	v_fma_f16 v10, v10, v1, v13
	v_lshrrev_b32_e32 v13, 16, v11
	v_mul_f16_sdwa v14, v13, v2 dst_sel:DWORD dst_unused:UNUSED_PAD src0_sel:DWORD src1_sel:WORD_1
	v_fma_f16 v14, v11, v2, -v14
	v_mul_f16_sdwa v11, v11, v2 dst_sel:DWORD dst_unused:UNUSED_PAD src0_sel:DWORD src1_sel:WORD_1
	v_fma_f16 v11, v13, v2, v11
	v_lshrrev_b32_e32 v13, 16, v9
	v_fma_f16 v8, v15, v0, -v8
	v_mul_f16_sdwa v15, v13, v3 dst_sel:DWORD dst_unused:UNUSED_PAD src0_sel:DWORD src1_sel:WORD_1
	v_fma_f16 v15, v9, v3, -v15
	v_mul_f16_sdwa v9, v9, v3 dst_sel:DWORD dst_unused:UNUSED_PAD src0_sel:DWORD src1_sel:WORD_1
	v_fma_f16 v9, v13, v3, v9
	v_fma_f16 v13, v64, s18, v59
	v_fma_f16 v13, v65, s19, v13
	v_fma_f16 v13, v37, s16, v13
	v_fma_f16 v30, v66, s14, v60
	v_add_f16_e32 v31, v12, v14
	v_add_f16_e32 v32, v8, v15
	v_sub_f16_e32 v34, v8, v12
	v_sub_f16_e32 v37, v15, v14
	v_fma_f16 v30, v67, s15, v30
	v_fma_f16 v31, v31, -0.5, v7
	v_fma_f16 v32, v32, -0.5, v7
	v_lshrrev_b32_e32 v33, 16, v7
	v_add_f16_e32 v7, v7, v8
	v_add_f16_e32 v34, v34, v37
	v_sub_f16_e32 v37, v6, v9
	ds_write2_b32 v57, v58, v61 offset1:2
	v_fma_f16 v30, v38, s16, v30
	v_fma_f16 v38, v37, s14, v31
	v_sub_f16_e32 v58, v10, v11
	v_fma_f16 v31, v37, s18, v31
	v_add_f16_e32 v7, v7, v12
	v_fma_f16 v38, v58, s15, v38
	v_fma_f16 v31, v58, s19, v31
	v_add_f16_e32 v7, v7, v14
	v_fma_f16 v38, v34, s16, v38
	v_fma_f16 v31, v34, s16, v31
	v_sub_f16_e32 v34, v12, v8
	v_sub_f16_e32 v59, v14, v15
	v_add_f16_e32 v7, v7, v15
	v_sub_f16_e32 v8, v8, v15
	v_sub_f16_e32 v12, v12, v14
	;; [unrolled: 1-line block ×4, first 2 shown]
	v_add_f16_e32 v34, v34, v59
	v_fma_f16 v59, v58, s18, v32
	v_fma_f16 v32, v58, s14, v32
	v_add_f16_e32 v14, v14, v15
	v_add_f16_e32 v15, v10, v11
	v_fma_f16 v58, v37, s15, v59
	v_fma_f16 v32, v37, s19, v32
	v_fma_f16 v15, v15, -0.5, v33
	v_fma_f16 v37, v34, s16, v58
	v_fma_f16 v32, v34, s16, v32
	;; [unrolled: 1-line block ×8, first 2 shown]
	v_add_f16_e32 v15, v6, v9
	v_fma_f16 v15, v15, -0.5, v33
	v_add_f16_e32 v33, v33, v6
	v_add_f16_e32 v33, v33, v10
	v_sub_f16_e32 v6, v10, v6
	v_add_f16_e32 v10, v33, v11
	v_add_f16_e32 v10, v10, v9
	v_sub_f16_e32 v9, v11, v9
	v_add_f16_e32 v6, v6, v9
	v_fma_f16 v9, v12, s14, v15
	v_fma_f16 v11, v12, s18, v15
	;; [unrolled: 1-line block ×6, first 2 shown]
	v_sub_f16_e32 v6, v5, v16
	v_sub_f16_e32 v11, v25, v17
	v_add_f16_e32 v6, v6, v11
	v_add_f16_e32 v11, v16, v17
	v_fma_f16 v11, v11, -0.5, v4
	v_fma_f16 v12, v35, s14, v11
	v_fma_f16 v11, v35, s18, v11
	;; [unrolled: 1-line block ×6, first 2 shown]
	v_sub_f16_e32 v6, v27, v28
	v_sub_f16_e32 v11, v26, v29
	v_add_f16_e32 v11, v6, v11
	v_add_f16_e32 v12, v28, v29
	v_lshrrev_b32_e32 v6, 16, v4
	v_fma_f16 v12, v12, -0.5, v6
	v_sub_f16_e32 v15, v5, v25
	v_fma_f16 v33, v15, s18, v12
	v_sub_f16_e32 v35, v16, v17
	v_fma_f16 v12, v15, s14, v12
	v_fma_f16 v33, v35, s19, v33
	v_fma_f16 v12, v35, s15, v12
	v_fma_f16 v66, v11, s16, v33
	v_fma_f16 v60, v11, s16, v12
	v_sub_f16_e32 v11, v28, v27
	v_sub_f16_e32 v12, v29, v26
	v_add_f16_e32 v11, v11, v12
	v_add_f16_e32 v12, v27, v26
	v_fma_f16 v12, v12, -0.5, v6
	v_fma_f16 v33, v35, s14, v12
	v_fma_f16 v12, v35, s18, v12
	;; [unrolled: 1-line block ×6, first 2 shown]
	v_pack_b32_f16 v11, v13, v30
	ds_write_b32 v57, v11 offset:32
	v_lshrrev_b32_e32 v11, 1, v19
	v_mul_u32_u24_e32 v11, 10, v11
	v_or_b32_e32 v11, v11, v53
	v_pack_b32_f16 v7, v7, v10
	v_pack_b32_f16 v10, v38, v34
	v_lshlrev_b32_e32 v63, 2, v11
	ds_write2_b32 v63, v7, v10 offset1:2
	v_pack_b32_f16 v7, v37, v9
	v_pack_b32_f16 v8, v32, v8
	v_fma_f16 v24, v24, s16, v68
	ds_write2_b32 v63, v7, v8 offset0:4 offset1:6
	v_pack_b32_f16 v7, v31, v14
	v_lshrrev_b32_e32 v58, 1, v18
	ds_write_b32 v63, v7 offset:32
	s_and_saveexec_b64 s[14:15], s[2:3]
	s_cbranch_execz .LBB0_11
; %bb.10:
	v_add_f16_e32 v6, v6, v27
	v_add_f16_e32 v4, v4, v5
	;; [unrolled: 1-line block ×6, first 2 shown]
	v_mul_u32_u24_e32 v5, 10, v58
	v_add_f16_e32 v6, v6, v26
	v_add_f16_e32 v4, v4, v25
	v_or_b32_e32 v5, v5, v53
	s_mov_b32 s16, 0x5040100
	v_lshlrev_b32_e32 v5, 2, v5
	v_pack_b32_f16 v4, v4, v6
	v_perm_b32 v6, v66, v65, s16
	ds_write2_b32 v5, v4, v6 offset1:2
	v_perm_b32 v4, v61, v23, s16
	v_perm_b32 v6, v62, v24, s16
	ds_write2_b32 v5, v4, v6 offset0:4 offset1:6
	v_perm_b32 v4, v60, v59, s16
	ds_write_b32 v5, v4 offset:32
.LBB0_11:
	s_or_b64 exec, exec, s[14:15]
	s_movk_i32 s14, 0xcd
	v_mul_lo_u16_sdwa v4, v50, s14 dst_sel:DWORD dst_unused:UNUSED_PAD src0_sel:BYTE_0 src1_sel:DWORD
	v_lshrrev_b16_e32 v29, 11, v4
	v_mul_lo_u16_e32 v4, 10, v29
	v_sub_u16_e32 v4, v50, v4
	v_and_b32_e32 v30, 0xff, v4
	v_mad_u64_u32 v[12:13], s[14:15], v30, 40, s[4:5]
	s_waitcnt lgkmcnt(0)
	s_barrier
	global_load_dwordx4 v[4:7], v[12:13], off offset:32
	global_load_dwordx4 v[8:11], v[12:13], off offset:48
	global_load_dwordx2 v[25:26], v[12:13], off offset:64
	ds_read2_b32 v[12:13], v41 offset1:110
	v_add_u32_e32 v33, 0x200, v41
	v_add_u32_e32 v31, 0x600, v41
	;; [unrolled: 1-line block ×4, first 2 shown]
	ds_read_b32 v35, v41 offset:4400
	ds_read2_b32 v[14:15], v33 offset0:92 offset1:202
	ds_read2_b32 v[16:17], v31 offset0:56 offset1:166
	;; [unrolled: 1-line block ×4, first 2 shown]
	s_waitcnt lgkmcnt(5)
	v_lshrrev_b32_e32 v36, 16, v13
	s_waitcnt lgkmcnt(3)
	v_lshrrev_b32_e32 v38, 16, v14
	v_lshrrev_b32_e32 v64, 16, v15
	s_waitcnt lgkmcnt(2)
	v_lshrrev_b32_e32 v67, 16, v16
	;; [unrolled: 3-line block ×4, first 2 shown]
	v_lshrrev_b32_e32 v37, 16, v35
	v_lshrrev_b32_e32 v72, 16, v28
	s_movk_i32 s14, 0x3abb
	s_movk_i32 s15, 0x36a6
	s_mov_b32 s16, 0xb08e
	s_mov_b32 s18, 0xb93d
	;; [unrolled: 1-line block ×3, first 2 shown]
	s_waitcnt vmcnt(0)
	s_barrier
	v_mul_f16_sdwa v73, v36, v4 dst_sel:DWORD dst_unused:UNUSED_PAD src0_sel:DWORD src1_sel:WORD_1
	v_mul_f16_sdwa v74, v13, v4 dst_sel:DWORD dst_unused:UNUSED_PAD src0_sel:DWORD src1_sel:WORD_1
	;; [unrolled: 1-line block ×3, first 2 shown]
	v_fma_f16 v13, v13, v4, -v73
	v_mul_f16_sdwa v76, v14, v5 dst_sel:DWORD dst_unused:UNUSED_PAD src0_sel:DWORD src1_sel:WORD_1
	v_mul_f16_sdwa v77, v64, v6 dst_sel:DWORD dst_unused:UNUSED_PAD src0_sel:DWORD src1_sel:WORD_1
	v_fma_f16 v36, v36, v4, v74
	v_fma_f16 v14, v14, v5, -v75
	v_add_f16_e32 v73, v12, v13
	v_mul_f16_sdwa v78, v15, v6 dst_sel:DWORD dst_unused:UNUSED_PAD src0_sel:DWORD src1_sel:WORD_1
	v_mul_f16_sdwa v79, v67, v7 dst_sel:DWORD dst_unused:UNUSED_PAD src0_sel:DWORD src1_sel:WORD_1
	v_fma_f16 v38, v38, v5, v76
	v_fma_f16 v15, v15, v6, -v77
	v_add_f16_sdwa v74, v12, v36 dst_sel:DWORD dst_unused:UNUSED_PAD src0_sel:WORD_1 src1_sel:DWORD
	v_add_f16_e32 v73, v73, v14
	v_mul_f16_sdwa v80, v16, v7 dst_sel:DWORD dst_unused:UNUSED_PAD src0_sel:DWORD src1_sel:WORD_1
	v_mul_f16_sdwa v81, v68, v8 dst_sel:DWORD dst_unused:UNUSED_PAD src0_sel:DWORD src1_sel:WORD_1
	v_fma_f16 v64, v64, v6, v78
	v_fma_f16 v16, v16, v7, -v79
	v_add_f16_e32 v74, v74, v38
	v_add_f16_e32 v73, v73, v15
	v_mul_f16_sdwa v82, v17, v8 dst_sel:DWORD dst_unused:UNUSED_PAD src0_sel:DWORD src1_sel:WORD_1
	v_mul_f16_sdwa v83, v69, v9 dst_sel:DWORD dst_unused:UNUSED_PAD src0_sel:DWORD src1_sel:WORD_1
	v_fma_f16 v67, v67, v7, v80
	v_fma_f16 v17, v17, v8, -v81
	v_add_f16_e32 v74, v74, v64
	;; [unrolled: 6-line block ×4, first 2 shown]
	v_add_f16_e32 v73, v73, v18
	v_mul_f16_sdwa v88, v27, v11 dst_sel:DWORD dst_unused:UNUSED_PAD src0_sel:DWORD src1_sel:WORD_1
	v_mul_f16_sdwa v89, v72, v25 dst_sel:DWORD dst_unused:UNUSED_PAD src0_sel:DWORD src1_sel:WORD_1
	v_mul_f16_sdwa v91, v37, v26 dst_sel:DWORD dst_unused:UNUSED_PAD src0_sel:DWORD src1_sel:WORD_1
	v_mul_f16_sdwa v92, v35, v26 dst_sel:DWORD dst_unused:UNUSED_PAD src0_sel:DWORD src1_sel:WORD_1
	v_fma_f16 v70, v70, v10, v86
	v_fma_f16 v27, v27, v11, -v87
	v_add_f16_e32 v74, v74, v69
	v_add_f16_e32 v73, v73, v19
	v_mul_f16_sdwa v90, v28, v25 dst_sel:DWORD dst_unused:UNUSED_PAD src0_sel:DWORD src1_sel:WORD_1
	v_fma_f16 v71, v71, v11, v88
	v_fma_f16 v28, v28, v25, -v89
	v_fma_f16 v35, v35, v26, -v91
	v_fma_f16 v37, v37, v26, v92
	v_add_f16_e32 v74, v74, v70
	v_add_f16_e32 v73, v73, v27
	v_fma_f16 v72, v72, v25, v90
	v_add_f16_e32 v75, v13, v35
	v_add_f16_e32 v76, v36, v37
	v_sub_f16_e32 v13, v13, v35
	v_sub_f16_e32 v36, v36, v37
	v_add_f16_e32 v74, v74, v71
	v_add_f16_e32 v73, v73, v28
	v_mul_f16_e32 v77, 0xb853, v36
	v_add_f16_e32 v74, v74, v72
	v_add_f16_e32 v35, v73, v35
	v_mul_f16_e32 v73, 0xb853, v13
	v_mul_f16_e32 v79, 0xbb47, v36
	;; [unrolled: 1-line block ×9, first 2 shown]
	v_fma_f16 v78, v75, s14, -v77
	v_add_f16_e32 v37, v74, v37
	v_fma_f16 v74, v76, s14, v73
	v_fma_f16 v77, v75, s14, v77
	v_fma_f16 v73, v76, s14, -v73
	v_fma_f16 v80, v75, s15, -v79
	v_fma_f16 v82, v76, s15, v81
	v_fma_f16 v79, v75, s15, v79
	v_fma_f16 v81, v76, s15, -v81
	v_fma_f16 v84, v75, s16, -v83
	;; [unrolled: 4-line block ×4, first 2 shown]
	v_fma_f16 v92, v76, s19, v13
	v_fma_f16 v36, v75, s19, v36
	v_fma_f16 v13, v76, s19, -v13
	v_add_f16_e32 v78, v12, v78
	v_add_f16_sdwa v74, v12, v74 dst_sel:DWORD dst_unused:UNUSED_PAD src0_sel:WORD_1 src1_sel:DWORD
	v_add_f16_e32 v77, v12, v77
	v_add_f16_sdwa v73, v12, v73 dst_sel:DWORD dst_unused:UNUSED_PAD src0_sel:WORD_1 src1_sel:DWORD
	;; [unrolled: 2-line block ×10, first 2 shown]
	v_add_f16_e32 v13, v14, v28
	v_sub_f16_e32 v14, v14, v28
	v_sub_f16_e32 v28, v38, v72
	v_add_f16_e32 v75, v38, v72
	v_mul_f16_e32 v38, 0xbb47, v28
	v_fma_f16 v72, v13, s15, -v38
	v_mul_f16_e32 v76, 0xbb47, v14
	v_add_f16_e32 v72, v72, v78
	v_fma_f16 v78, v75, s15, v76
	v_fma_f16 v76, v75, s15, -v76
	v_fma_f16 v38, v13, s15, v38
	v_add_f16_e32 v73, v76, v73
	v_mul_f16_e32 v76, 0xba0c, v28
	v_add_f16_e32 v74, v78, v74
	v_add_f16_e32 v38, v38, v77
	v_fma_f16 v77, v13, s18, -v76
	v_mul_f16_e32 v78, 0xba0c, v14
	v_fma_f16 v76, v13, s18, v76
	v_add_f16_e32 v77, v77, v80
	v_fma_f16 v80, v75, s18, v78
	v_add_f16_e32 v76, v76, v79
	v_fma_f16 v78, v75, s18, -v78
	v_mul_f16_e32 v79, 0x3482, v28
	v_add_f16_e32 v80, v80, v82
	v_add_f16_e32 v78, v78, v81
	v_fma_f16 v81, v13, s19, -v79
	v_mul_f16_e32 v82, 0x3482, v14
	v_fma_f16 v79, v13, s19, v79
	v_add_f16_e32 v81, v81, v84
	v_fma_f16 v84, v75, s19, v82
	v_add_f16_e32 v79, v79, v83
	v_fma_f16 v82, v75, s19, -v82
	v_mul_f16_e32 v83, 0x3beb, v28
	v_add_f16_e32 v84, v84, v86
	v_add_f16_e32 v82, v82, v85
	v_fma_f16 v85, v13, s16, -v83
	v_mul_f16_e32 v86, 0x3beb, v14
	v_add_f16_e32 v85, v85, v88
	v_fma_f16 v88, v75, s16, v86
	v_fma_f16 v86, v75, s16, -v86
	v_mul_f16_e32 v14, 0x3853, v14
	v_fma_f16 v83, v13, s16, v83
	v_add_f16_e32 v86, v86, v89
	v_mul_f16_e32 v28, 0x3853, v28
	v_fma_f16 v89, v75, s14, v14
	v_fma_f16 v14, v75, s14, -v14
	v_add_f16_e32 v83, v83, v87
	v_fma_f16 v87, v13, s14, -v28
	v_fma_f16 v13, v13, s14, v28
	v_add_f16_e32 v12, v14, v12
	v_add_f16_e32 v14, v15, v27
	v_sub_f16_e32 v15, v15, v27
	v_sub_f16_e32 v27, v64, v71
	v_add_f16_e32 v13, v13, v36
	v_mul_f16_e32 v36, 0xbbeb, v27
	v_add_f16_e32 v28, v64, v71
	v_fma_f16 v64, v14, s16, -v36
	v_mul_f16_e32 v71, 0xbbeb, v15
	v_fma_f16 v36, v14, s16, v36
	v_add_f16_e32 v64, v64, v72
	v_fma_f16 v72, v28, s16, v71
	v_add_f16_e32 v36, v36, v38
	v_fma_f16 v38, v28, s16, -v71
	v_mul_f16_e32 v71, 0x3482, v27
	v_add_f16_e32 v38, v38, v73
	v_fma_f16 v73, v14, s19, -v71
	v_fma_f16 v71, v14, s19, v71
	v_add_f16_e32 v72, v72, v74
	v_mul_f16_e32 v74, 0x3482, v15
	v_add_f16_e32 v71, v71, v76
	v_mul_f16_e32 v76, 0x3b47, v27
	v_add_f16_e32 v73, v73, v77
	v_fma_f16 v75, v28, s19, v74
	v_fma_f16 v74, v28, s19, -v74
	v_fma_f16 v77, v14, s15, -v76
	v_fma_f16 v76, v14, s15, v76
	v_add_f16_e32 v74, v74, v78
	v_mul_f16_e32 v78, 0x3b47, v15
	v_add_f16_e32 v76, v76, v79
	v_mul_f16_e32 v79, 0xb853, v27
	v_add_f16_e32 v75, v75, v80
	v_add_f16_e32 v77, v77, v81
	v_fma_f16 v80, v28, s15, v78
	v_fma_f16 v78, v28, s15, -v78
	v_fma_f16 v81, v14, s14, -v79
	v_fma_f16 v79, v14, s14, v79
	v_mul_f16_e32 v27, 0xba0c, v27
	v_add_f16_e32 v78, v78, v82
	v_mul_f16_e32 v82, 0xb853, v15
	v_add_f16_e32 v79, v79, v83
	v_fma_f16 v83, v14, s18, -v27
	v_mul_f16_e32 v15, 0xba0c, v15
	v_fma_f16 v14, v14, s18, v27
	v_add_f16_e32 v13, v14, v13
	v_fma_f16 v14, v28, s18, -v15
	v_add_f16_e32 v12, v14, v12
	v_add_f16_e32 v14, v16, v19
	v_sub_f16_e32 v16, v16, v19
	v_sub_f16_e32 v19, v67, v70
	v_mul_f16_e32 v27, 0xba0c, v19
	v_add_f16_e32 v80, v80, v84
	v_add_f16_e32 v81, v81, v85
	v_fma_f16 v84, v28, s14, v82
	v_fma_f16 v82, v28, s14, -v82
	v_fma_f16 v85, v28, s18, v15
	v_fma_f16 v28, v14, s18, -v27
	v_add_f16_e32 v15, v67, v70
	v_add_f16_e32 v28, v28, v64
	v_mul_f16_e32 v64, 0xba0c, v16
	v_fma_f16 v27, v14, s18, v27
	v_add_f16_e32 v27, v27, v36
	v_fma_f16 v36, v15, s18, -v64
	v_add_f16_e32 v36, v36, v38
	v_mul_f16_e32 v38, 0x3beb, v19
	v_fma_f16 v67, v15, s18, v64
	v_fma_f16 v64, v14, s16, -v38
	v_fma_f16 v38, v14, s16, v38
	v_mul_f16_e32 v70, 0x3beb, v16
	v_add_f16_e32 v38, v38, v71
	v_mul_f16_e32 v71, 0xb853, v19
	v_add_f16_e32 v67, v67, v72
	v_add_f16_e32 v64, v64, v73
	v_fma_f16 v72, v15, s16, v70
	v_fma_f16 v70, v15, s16, -v70
	v_fma_f16 v73, v14, s14, -v71
	v_fma_f16 v71, v14, s14, v71
	v_add_f16_e32 v70, v70, v74
	v_mul_f16_e32 v74, 0xb853, v16
	v_add_f16_e32 v71, v71, v76
	v_mul_f16_e32 v76, 0xb482, v19
	v_add_f16_e32 v72, v72, v75
	v_add_f16_e32 v73, v73, v77
	v_fma_f16 v75, v15, s14, v74
	v_fma_f16 v74, v15, s14, -v74
	v_fma_f16 v77, v14, s19, -v76
	v_fma_f16 v76, v14, s19, v76
	v_mul_f16_e32 v19, 0x3b47, v19
	v_add_f16_e32 v74, v74, v78
	v_mul_f16_e32 v78, 0xb482, v16
	v_add_f16_e32 v76, v76, v79
	v_fma_f16 v79, v14, s15, -v19
	v_mul_f16_e32 v16, 0x3b47, v16
	v_fma_f16 v14, v14, s15, v19
	v_add_f16_e32 v13, v14, v13
	v_fma_f16 v14, v15, s15, -v16
	v_add_f16_e32 v77, v77, v81
	v_fma_f16 v81, v15, s15, v16
	v_add_f16_e32 v12, v14, v12
	v_add_f16_e32 v14, v17, v18
	v_sub_f16_e32 v16, v17, v18
	v_sub_f16_e32 v17, v68, v69
	v_mul_f16_e32 v18, 0xb482, v17
	v_fma_f16 v19, v14, s19, -v18
	v_add_f16_e32 v75, v75, v80
	v_fma_f16 v80, v15, s19, v78
	v_fma_f16 v78, v15, s19, -v78
	v_add_f16_e32 v15, v68, v69
	v_add_f16_e32 v19, v19, v28
	v_mul_f16_e32 v28, 0xb482, v16
	v_fma_f16 v18, v14, s19, v18
	v_fma_f16 v68, v15, s19, v28
	v_add_f16_e32 v18, v18, v27
	v_fma_f16 v27, v15, s19, -v28
	v_mul_f16_e32 v28, 0x3853, v17
	v_add_f16_e32 v27, v27, v36
	v_fma_f16 v36, v14, s14, -v28
	v_add_f16_e32 v36, v36, v64
	v_mul_f16_e32 v64, 0x3853, v16
	v_fma_f16 v28, v14, s14, v28
	v_add_f16_e32 v67, v68, v67
	v_fma_f16 v68, v15, s14, v64
	v_add_f16_e32 v28, v28, v38
	v_fma_f16 v38, v15, s14, -v64
	v_mul_f16_e32 v64, 0xba0c, v17
	v_add_f16_e32 v38, v38, v70
	v_fma_f16 v69, v14, s18, -v64
	v_mul_f16_e32 v70, 0xba0c, v16
	v_fma_f16 v64, v14, s18, v64
	v_add_f16_e32 v71, v64, v71
	v_fma_f16 v64, v15, s18, -v70
	v_add_f16_e32 v68, v68, v72
	v_fma_f16 v72, v15, s18, v70
	v_add_f16_e32 v70, v64, v74
	v_mul_f16_e32 v64, 0x3b47, v17
	v_add_f16_e32 v82, v82, v86
	v_add_f16_e32 v69, v69, v73
	v_fma_f16 v73, v14, s15, -v64
	v_mul_f16_e32 v74, 0x3b47, v16
	v_fma_f16 v64, v14, s15, v64
	v_add_f16_e32 v87, v87, v91
	v_add_f16_e32 v78, v78, v82
	;; [unrolled: 1-line block ×3, first 2 shown]
	v_fma_f16 v64, v15, s15, -v74
	v_mul_f16_e32 v17, 0xbbeb, v17
	v_add_f16_e32 v89, v89, v92
	v_add_f16_e32 v83, v83, v87
	;; [unrolled: 1-line block ×3, first 2 shown]
	v_fma_f16 v75, v15, s15, v74
	v_add_f16_e32 v74, v64, v78
	v_fma_f16 v64, v14, s16, -v17
	v_mul_f16_e32 v16, 0xbbeb, v16
	v_fma_f16 v14, v14, s16, v17
	v_add_f16_e32 v85, v85, v89
	v_add_f16_e32 v79, v79, v83
	;; [unrolled: 1-line block ×3, first 2 shown]
	v_fma_f16 v14, v15, s16, -v16
	v_add_f16_e32 v88, v88, v90
	v_add_f16_e32 v81, v81, v85
	;; [unrolled: 1-line block ×4, first 2 shown]
	v_fma_f16 v64, v15, s16, v16
	v_add_f16_e32 v12, v14, v12
	v_mul_u32_u24_e32 v14, 0x6e, v29
	v_add_f16_e32 v84, v84, v88
	v_add_f16_e32 v78, v64, v81
	v_add_lshl_u32 v64, v14, v30, 2
	v_mad_u64_u32 v[29:30], s[4:5], v50, 40, s[4:5]
	v_add_f16_e32 v80, v80, v84
	v_pack_b32_f16 v14, v35, v37
	v_pack_b32_f16 v15, v19, v67
	;; [unrolled: 1-line block ×4, first 2 shown]
	v_add_f16_e32 v75, v75, v80
	ds_write2_b32 v64, v14, v15 offset1:10
	v_pack_b32_f16 v14, v36, v68
	v_pack_b32_f16 v15, v69, v72
	ds_write2_b32 v64, v12, v13 offset0:60 offset1:70
	v_pack_b32_f16 v12, v71, v70
	v_pack_b32_f16 v13, v28, v38
	ds_write2_b32 v64, v14, v15 offset0:20 offset1:30
	;; [unrolled: 3-line block ×3, first 2 shown]
	v_pack_b32_f16 v12, v18, v27
	ds_write2_b32 v64, v14, v15 offset0:40 offset1:50
	ds_write_b32 v64, v12 offset:400
	s_waitcnt lgkmcnt(0)
	s_barrier
	global_load_dwordx4 v[12:15], v[29:30], off offset:432
	global_load_dwordx4 v[16:19], v[29:30], off offset:448
	global_load_dwordx2 v[27:28], v[29:30], off offset:464
	ds_read2_b32 v[29:30], v41 offset1:110
	ds_read2_b32 v[35:36], v33 offset0:92 offset1:202
	v_mov_b32_e32 v37, s17
	v_addc_co_u32_e64 v71, vcc, 0, v37, s[6:7]
	s_waitcnt lgkmcnt(1)
	v_lshrrev_b32_e32 v72, 16, v30
	ds_read2_b32 v[37:38], v31 offset0:56 offset1:166
	s_waitcnt lgkmcnt(1)
	v_lshrrev_b32_e32 v73, 16, v35
	v_lshrrev_b32_e32 v74, 16, v36
	ds_read2_b32 v[67:68], v34 offset0:20 offset1:130
	ds_read2_b32 v[69:70], v32 offset0:112 offset1:222
	s_waitcnt lgkmcnt(2)
	v_lshrrev_b32_e32 v75, 16, v37
	v_lshrrev_b32_e32 v76, 16, v38
	ds_read_b32 v77, v41 offset:4400
	s_waitcnt lgkmcnt(2)
	v_lshrrev_b32_e32 v78, 16, v67
	v_lshrrev_b32_e32 v79, 16, v68
	s_waitcnt lgkmcnt(1)
	v_lshrrev_b32_e32 v80, 16, v69
	v_lshrrev_b32_e32 v81, 16, v70
	s_waitcnt lgkmcnt(0)
	v_lshrrev_b32_e32 v82, 16, v77
	s_movk_i32 s4, 0x1000
	s_waitcnt vmcnt(2)
	v_mul_f16_sdwa v83, v72, v12 dst_sel:DWORD dst_unused:UNUSED_PAD src0_sel:DWORD src1_sel:WORD_1
	v_fma_f16 v83, v30, v12, -v83
	v_mul_f16_sdwa v30, v30, v12 dst_sel:DWORD dst_unused:UNUSED_PAD src0_sel:DWORD src1_sel:WORD_1
	v_fma_f16 v30, v72, v12, v30
	v_mul_f16_sdwa v72, v73, v13 dst_sel:DWORD dst_unused:UNUSED_PAD src0_sel:DWORD src1_sel:WORD_1
	v_fma_f16 v72, v35, v13, -v72
	v_mul_f16_sdwa v35, v35, v13 dst_sel:DWORD dst_unused:UNUSED_PAD src0_sel:DWORD src1_sel:WORD_1
	v_fma_f16 v35, v73, v13, v35
	;; [unrolled: 4-line block ×4, first 2 shown]
	s_waitcnt vmcnt(1)
	v_mul_f16_sdwa v75, v76, v16 dst_sel:DWORD dst_unused:UNUSED_PAD src0_sel:DWORD src1_sel:WORD_1
	v_fma_f16 v75, v38, v16, -v75
	v_mul_f16_sdwa v38, v38, v16 dst_sel:DWORD dst_unused:UNUSED_PAD src0_sel:DWORD src1_sel:WORD_1
	v_fma_f16 v38, v76, v16, v38
	v_mul_f16_sdwa v76, v78, v17 dst_sel:DWORD dst_unused:UNUSED_PAD src0_sel:DWORD src1_sel:WORD_1
	v_fma_f16 v76, v67, v17, -v76
	v_mul_f16_sdwa v67, v67, v17 dst_sel:DWORD dst_unused:UNUSED_PAD src0_sel:DWORD src1_sel:WORD_1
	v_fma_f16 v67, v78, v17, v67
	;; [unrolled: 4-line block ×4, first 2 shown]
	s_waitcnt vmcnt(0)
	v_mul_f16_sdwa v80, v81, v27 dst_sel:DWORD dst_unused:UNUSED_PAD src0_sel:DWORD src1_sel:WORD_1
	v_fma_f16 v80, v70, v27, -v80
	v_mul_f16_sdwa v70, v70, v27 dst_sel:DWORD dst_unused:UNUSED_PAD src0_sel:DWORD src1_sel:WORD_1
	v_fma_f16 v70, v81, v27, v70
	v_mul_f16_sdwa v81, v82, v28 dst_sel:DWORD dst_unused:UNUSED_PAD src0_sel:DWORD src1_sel:WORD_1
	v_fma_f16 v81, v77, v28, -v81
	v_mul_f16_sdwa v77, v77, v28 dst_sel:DWORD dst_unused:UNUSED_PAD src0_sel:DWORD src1_sel:WORD_1
	v_fma_f16 v77, v82, v28, v77
	v_add_f16_e32 v82, v29, v83
	v_add_f16_sdwa v84, v29, v30 dst_sel:DWORD dst_unused:UNUSED_PAD src0_sel:WORD_1 src1_sel:DWORD
	v_add_f16_e32 v82, v82, v72
	v_add_f16_e32 v84, v84, v35
	v_add_f16_e32 v82, v82, v73
	v_add_f16_e32 v84, v84, v36
	v_add_f16_e32 v82, v82, v74
	v_add_f16_e32 v84, v84, v37
	v_add_f16_e32 v82, v82, v75
	v_add_f16_e32 v84, v84, v38
	v_add_f16_e32 v82, v82, v76
	v_add_f16_e32 v84, v84, v67
	v_add_f16_e32 v82, v82, v78
	v_add_f16_e32 v84, v84, v68
	v_add_f16_e32 v82, v82, v79
	v_add_f16_e32 v84, v84, v69
	v_add_f16_e32 v82, v82, v80
	v_add_f16_e32 v84, v84, v70
	v_add_f16_e32 v82, v82, v81
	v_add_f16_e32 v85, v83, v81
	v_add_f16_e32 v86, v30, v77
	v_sub_f16_e32 v81, v83, v81
	v_sub_f16_e32 v30, v30, v77
	v_add_f16_e32 v84, v84, v77
	v_mul_f16_e32 v77, 0xb853, v30
	v_mul_f16_e32 v87, 0xb853, v81
	;; [unrolled: 1-line block ×10, first 2 shown]
	v_fma_f16 v83, v85, s14, -v77
	v_fma_f16 v88, v86, s14, v87
	v_fma_f16 v77, v85, s14, v77
	v_fma_f16 v87, v86, s14, -v87
	v_fma_f16 v90, v85, s15, -v89
	v_fma_f16 v92, v86, s15, v91
	v_fma_f16 v89, v85, s15, v89
	v_fma_f16 v91, v86, s15, -v91
	;; [unrolled: 4-line block ×5, first 2 shown]
	v_add_f16_e32 v85, v35, v70
	v_sub_f16_e32 v35, v35, v70
	v_add_f16_e32 v83, v29, v83
	v_add_f16_sdwa v88, v29, v88 dst_sel:DWORD dst_unused:UNUSED_PAD src0_sel:WORD_1 src1_sel:DWORD
	v_add_f16_e32 v77, v29, v77
	v_add_f16_sdwa v87, v29, v87 dst_sel:DWORD dst_unused:UNUSED_PAD src0_sel:WORD_1 src1_sel:DWORD
	;; [unrolled: 2-line block ×10, first 2 shown]
	v_add_f16_e32 v81, v72, v80
	v_mul_f16_e32 v70, 0xbb47, v35
	v_sub_f16_e32 v72, v72, v80
	v_fma_f16 v80, v81, s15, -v70
	v_add_f16_e32 v80, v80, v83
	v_mul_f16_e32 v83, 0xbb47, v72
	v_fma_f16 v70, v81, s15, v70
	v_fma_f16 v86, v85, s15, v83
	v_add_f16_e32 v70, v70, v77
	v_fma_f16 v77, v85, s15, -v83
	v_mul_f16_e32 v83, 0xba0c, v35
	v_add_f16_e32 v86, v86, v88
	v_add_f16_e32 v77, v77, v87
	v_fma_f16 v87, v81, s18, -v83
	v_mul_f16_e32 v88, 0xba0c, v72
	v_fma_f16 v83, v81, s18, v83
	v_add_f16_e32 v87, v87, v90
	v_fma_f16 v90, v85, s18, v88
	v_add_f16_e32 v83, v83, v89
	v_fma_f16 v88, v85, s18, -v88
	v_mul_f16_e32 v89, 0x3482, v35
	v_add_f16_e32 v90, v90, v92
	v_add_f16_e32 v88, v88, v91
	v_fma_f16 v91, v81, s19, -v89
	v_mul_f16_e32 v92, 0x3482, v72
	v_fma_f16 v89, v81, s19, v89
	v_add_f16_e32 v91, v91, v94
	v_fma_f16 v94, v85, s19, v92
	v_add_f16_e32 v89, v89, v93
	v_fma_f16 v92, v85, s19, -v92
	v_mul_f16_e32 v93, 0x3beb, v35
	v_add_f16_e32 v94, v94, v96
	v_add_f16_e32 v92, v92, v95
	v_fma_f16 v95, v81, s16, -v93
	v_mul_f16_e32 v96, 0x3beb, v72
	v_fma_f16 v93, v81, s16, v93
	v_mul_f16_e32 v35, 0x3853, v35
	v_add_f16_e32 v95, v95, v98
	v_fma_f16 v98, v85, s16, v96
	v_add_f16_e32 v93, v93, v97
	v_fma_f16 v96, v85, s16, -v96
	v_fma_f16 v97, v81, s14, -v35
	v_mul_f16_e32 v72, 0x3853, v72
	v_fma_f16 v35, v81, s14, v35
	v_add_f16_e32 v96, v96, v99
	v_fma_f16 v99, v85, s14, v72
	v_add_f16_e32 v30, v35, v30
	v_fma_f16 v35, v85, s14, -v72
	v_add_f16_e32 v72, v36, v69
	v_sub_f16_e32 v36, v36, v69
	v_add_f16_e32 v29, v35, v29
	v_add_f16_e32 v35, v73, v79
	v_mul_f16_e32 v69, 0xbbeb, v36
	v_sub_f16_e32 v73, v73, v79
	v_fma_f16 v79, v35, s16, -v69
	v_add_f16_e32 v79, v79, v80
	v_mul_f16_e32 v80, 0xbbeb, v73
	v_fma_f16 v69, v35, s16, v69
	v_add_f16_e32 v69, v69, v70
	v_fma_f16 v70, v72, s16, -v80
	v_add_f16_e32 v70, v70, v77
	v_mul_f16_e32 v77, 0x3482, v36
	v_fma_f16 v81, v72, s16, v80
	v_fma_f16 v80, v35, s19, -v77
	v_mul_f16_e32 v85, 0x3482, v73
	v_fma_f16 v77, v35, s19, v77
	v_add_f16_e32 v81, v81, v86
	v_fma_f16 v86, v72, s19, v85
	v_add_f16_e32 v77, v77, v83
	v_fma_f16 v83, v72, s19, -v85
	v_mul_f16_e32 v85, 0x3b47, v36
	v_add_f16_e32 v80, v80, v87
	v_fma_f16 v87, v35, s15, -v85
	v_fma_f16 v85, v35, s15, v85
	v_add_f16_e32 v83, v83, v88
	v_mul_f16_e32 v88, 0x3b47, v73
	v_add_f16_e32 v85, v85, v89
	v_mul_f16_e32 v89, 0xb853, v36
	v_add_f16_e32 v86, v86, v90
	v_add_f16_e32 v87, v87, v91
	v_fma_f16 v90, v72, s15, v88
	v_fma_f16 v88, v72, s15, -v88
	v_fma_f16 v91, v35, s14, -v89
	v_fma_f16 v89, v35, s14, v89
	v_mul_f16_e32 v36, 0xba0c, v36
	v_add_f16_e32 v88, v88, v92
	v_mul_f16_e32 v92, 0xb853, v73
	v_add_f16_e32 v89, v89, v93
	v_fma_f16 v93, v35, s18, -v36
	v_mul_f16_e32 v73, 0xba0c, v73
	v_fma_f16 v35, v35, s18, v36
	v_add_f16_e32 v30, v35, v30
	v_fma_f16 v35, v72, s18, -v73
	v_add_f16_e32 v36, v37, v68
	v_sub_f16_e32 v37, v37, v68
	v_add_f16_e32 v90, v90, v94
	v_add_f16_e32 v91, v91, v95
	v_fma_f16 v94, v72, s14, v92
	v_fma_f16 v92, v72, s14, -v92
	v_fma_f16 v95, v72, s18, v73
	v_add_f16_e32 v29, v35, v29
	v_add_f16_e32 v35, v74, v78
	v_sub_f16_e32 v72, v74, v78
	v_mul_f16_e32 v68, 0xba0c, v37
	v_fma_f16 v73, v35, s18, -v68
	v_mul_f16_e32 v74, 0xba0c, v72
	v_fma_f16 v68, v35, s18, v68
	v_add_f16_e32 v68, v68, v69
	v_fma_f16 v69, v36, s18, -v74
	v_add_f16_e32 v69, v69, v70
	v_mul_f16_e32 v70, 0x3beb, v37
	v_add_f16_e32 v73, v73, v79
	v_fma_f16 v78, v36, s18, v74
	v_fma_f16 v74, v35, s16, -v70
	v_mul_f16_e32 v79, 0x3beb, v72
	v_fma_f16 v70, v35, s16, v70
	v_add_f16_e32 v74, v74, v80
	v_fma_f16 v80, v36, s16, v79
	v_add_f16_e32 v70, v70, v77
	v_fma_f16 v77, v36, s16, -v79
	v_mul_f16_e32 v79, 0xb853, v37
	v_add_f16_e32 v78, v78, v81
	v_fma_f16 v81, v35, s14, -v79
	v_fma_f16 v79, v35, s14, v79
	v_add_f16_e32 v77, v77, v83
	v_mul_f16_e32 v83, 0xb853, v72
	v_add_f16_e32 v79, v79, v85
	v_mul_f16_e32 v85, 0xb482, v37
	v_add_f16_e32 v80, v80, v86
	v_add_f16_e32 v81, v81, v87
	v_fma_f16 v86, v36, s14, v83
	v_fma_f16 v83, v36, s14, -v83
	v_fma_f16 v87, v35, s19, -v85
	v_fma_f16 v85, v35, s19, v85
	v_mul_f16_e32 v37, 0x3b47, v37
	v_add_f16_e32 v83, v83, v88
	v_mul_f16_e32 v88, 0xb482, v72
	v_add_f16_e32 v85, v85, v89
	v_fma_f16 v89, v35, s15, -v37
	v_mul_f16_e32 v72, 0x3b47, v72
	v_fma_f16 v35, v35, s15, v37
	v_add_f16_e32 v86, v86, v90
	v_add_f16_e32 v87, v87, v91
	v_fma_f16 v90, v36, s19, v88
	v_fma_f16 v88, v36, s19, -v88
	v_fma_f16 v91, v36, s15, v72
	v_add_f16_e32 v30, v35, v30
	v_fma_f16 v35, v36, s15, -v72
	v_add_f16_e32 v36, v38, v67
	v_sub_f16_e32 v38, v38, v67
	v_add_f16_e32 v29, v35, v29
	v_add_f16_e32 v35, v75, v76
	v_mul_f16_e32 v67, 0xb482, v38
	v_sub_f16_e32 v37, v75, v76
	v_fma_f16 v72, v35, s19, -v67
	v_add_f16_e32 v72, v72, v73
	v_mul_f16_e32 v73, 0xb482, v37
	v_fma_f16 v67, v35, s19, v67
	v_add_f16_e32 v67, v67, v68
	v_fma_f16 v68, v36, s19, -v73
	v_add_f16_e32 v68, v68, v69
	v_mul_f16_e32 v69, 0x3853, v38
	v_fma_f16 v75, v36, s19, v73
	v_fma_f16 v73, v35, s14, -v69
	v_add_f16_e32 v73, v73, v74
	v_mul_f16_e32 v74, 0x3853, v37
	v_fma_f16 v69, v35, s14, v69
	v_fma_f16 v76, v36, s14, v74
	v_add_f16_e32 v69, v69, v70
	v_fma_f16 v70, v36, s14, -v74
	v_mul_f16_e32 v74, 0xba0c, v38
	v_add_f16_e32 v70, v70, v77
	v_fma_f16 v77, v35, s18, -v74
	v_fma_f16 v74, v35, s18, v74
	v_add_f16_e32 v75, v75, v78
	v_mul_f16_e32 v78, 0xba0c, v37
	v_add_f16_e32 v74, v74, v79
	v_mul_f16_e32 v79, 0x3b47, v38
	v_add_f16_e32 v76, v76, v80
	v_add_f16_e32 v77, v77, v81
	v_fma_f16 v80, v36, s18, v78
	v_fma_f16 v78, v36, s18, -v78
	v_fma_f16 v81, v35, s15, -v79
	v_fma_f16 v79, v35, s15, v79
	v_mul_f16_e32 v38, 0xbbeb, v38
	v_add_f16_e32 v98, v98, v100
	v_add_f16_e32 v97, v97, v101
	;; [unrolled: 1-line block ×4, first 2 shown]
	v_mul_f16_e32 v83, 0x3b47, v37
	v_add_f16_e32 v79, v79, v85
	v_fma_f16 v85, v35, s16, -v38
	v_mul_f16_e32 v37, 0xbbeb, v37
	v_fma_f16 v35, v35, s16, v38
	v_add_f16_e32 v94, v94, v98
	v_add_f16_e32 v92, v92, v96
	v_add_f16_e32 v93, v93, v97
	v_add_f16_e32 v95, v95, v99
	v_add_f16_e32 v30, v35, v30
	v_fma_f16 v35, v36, s16, -v37
	v_add_f16_e32 v90, v90, v94
	v_add_f16_e32 v88, v88, v92
	;; [unrolled: 1-line block ×6, first 2 shown]
	v_fma_f16 v86, v36, s15, v83
	v_fma_f16 v83, v36, s15, -v83
	v_fma_f16 v87, v36, s16, v37
	v_add_f16_e32 v29, v35, v29
	v_pack_b32_f16 v35, v82, v84
	v_pack_b32_f16 v36, v72, v75
	v_add_f16_e32 v86, v86, v90
	v_add_f16_e32 v83, v83, v88
	;; [unrolled: 1-line block ×4, first 2 shown]
	ds_write2_b32 v41, v35, v36 offset1:110
	v_pack_b32_f16 v35, v73, v76
	v_pack_b32_f16 v36, v77, v80
	ds_write2_b32 v33, v35, v36 offset0:92 offset1:202
	v_pack_b32_f16 v35, v81, v86
	v_pack_b32_f16 v36, v85, v87
	;; [unrolled: 1-line block ×4, first 2 shown]
	ds_write2_b32 v31, v35, v36 offset0:56 offset1:166
	ds_write2_b32 v34, v29, v30 offset0:20 offset1:130
	v_pack_b32_f16 v29, v74, v78
	v_pack_b32_f16 v30, v69, v70
	ds_write2_b32 v32, v29, v30 offset0:112 offset1:222
	v_pack_b32_f16 v29, v67, v68
	ds_write_b32 v41, v29 offset:4400
	v_add_co_u32_e32 v29, vcc, s4, v20
	v_addc_co_u32_e32 v30, vcc, 0, v71, vcc
	s_waitcnt lgkmcnt(0)
	s_barrier
	global_load_dword v37, v[29:30], off offset:744
	s_movk_i32 s4, 0x12e8
	v_add_co_u32_e32 v29, vcc, s4, v20
	v_addc_co_u32_e32 v30, vcc, 0, v71, vcc
	global_load_dword v38, v[29:30], off offset:2420
	global_load_dword v72, v[29:30], off offset:440
	;; [unrolled: 1-line block ×8, first 2 shown]
	v_add_co_u32_e32 v35, vcc, 0x2000, v20
	v_addc_co_u32_e32 v36, vcc, 0, v71, vcc
	global_load_dword v79, v[35:36], off offset:828
	ds_read2_b32 v[35:36], v41 offset1:110
	s_waitcnt lgkmcnt(0)
	v_lshrrev_b32_e32 v69, 16, v35
	s_waitcnt vmcnt(9)
	v_mul_f16_sdwa v70, v69, v37 dst_sel:DWORD dst_unused:UNUSED_PAD src0_sel:DWORD src1_sel:WORD_1
	v_fma_f16 v70, v35, v37, -v70
	v_mul_f16_sdwa v35, v35, v37 dst_sel:DWORD dst_unused:UNUSED_PAD src0_sel:DWORD src1_sel:WORD_1
	v_fma_f16 v35, v69, v37, v35
	v_pack_b32_f16 v35, v70, v35
	ds_write_b32 v41, v35
	ds_read2_b32 v[69:70], v31 offset0:56 offset1:221
	s_waitcnt lgkmcnt(0)
	v_lshrrev_b32_e32 v35, 16, v70
	s_waitcnt vmcnt(8)
	v_mul_f16_sdwa v37, v35, v38 dst_sel:DWORD dst_unused:UNUSED_PAD src0_sel:DWORD src1_sel:WORD_1
	v_fma_f16 v37, v70, v38, -v37
	v_mul_f16_sdwa v70, v70, v38 dst_sel:DWORD dst_unused:UNUSED_PAD src0_sel:DWORD src1_sel:WORD_1
	v_fma_f16 v35, v35, v38, v70
	v_pack_b32_f16 v70, v37, v35
	ds_read2_b32 v[37:38], v34 offset0:75 offset1:185
	v_lshrrev_b32_e32 v35, 16, v36
	s_waitcnt vmcnt(7)
	v_mul_f16_sdwa v71, v35, v72 dst_sel:DWORD dst_unused:UNUSED_PAD src0_sel:DWORD src1_sel:WORD_1
	v_fma_f16 v71, v36, v72, -v71
	v_mul_f16_sdwa v36, v36, v72 dst_sel:DWORD dst_unused:UNUSED_PAD src0_sel:DWORD src1_sel:WORD_1
	v_fma_f16 v35, v35, v72, v36
	s_waitcnt lgkmcnt(0)
	v_lshrrev_b32_e32 v72, 16, v37
	v_pack_b32_f16 v71, v71, v35
	s_waitcnt vmcnt(6)
	v_mul_f16_sdwa v35, v72, v73 dst_sel:DWORD dst_unused:UNUSED_PAD src0_sel:DWORD src1_sel:WORD_1
	v_fma_f16 v80, v37, v73, -v35
	ds_read2_b32 v[35:36], v33 offset0:92 offset1:202
	v_mul_f16_sdwa v37, v37, v73 dst_sel:DWORD dst_unused:UNUSED_PAD src0_sel:DWORD src1_sel:WORD_1
	v_fma_f16 v37, v72, v73, v37
	v_pack_b32_f16 v37, v80, v37
	v_add_u32_e32 v72, 0x800, v41
	ds_write2_b32 v72, v70, v37 offset0:93 offset1:203
	s_waitcnt lgkmcnt(1)
	v_lshrrev_b32_e32 v37, 16, v35
	s_waitcnt vmcnt(5)
	v_mul_f16_sdwa v70, v37, v74 dst_sel:DWORD dst_unused:UNUSED_PAD src0_sel:DWORD src1_sel:WORD_1
	v_fma_f16 v70, v35, v74, -v70
	v_mul_f16_sdwa v35, v35, v74 dst_sel:DWORD dst_unused:UNUSED_PAD src0_sel:DWORD src1_sel:WORD_1
	v_fma_f16 v35, v37, v74, v35
	v_pack_b32_f16 v35, v70, v35
	ds_write2_b32 v41, v71, v35 offset0:110 offset1:220
	v_lshrrev_b32_e32 v35, 16, v38
	s_waitcnt vmcnt(4)
	v_mul_f16_sdwa v37, v35, v75 dst_sel:DWORD dst_unused:UNUSED_PAD src0_sel:DWORD src1_sel:WORD_1
	v_fma_f16 v37, v38, v75, -v37
	v_mul_f16_sdwa v38, v38, v75 dst_sel:DWORD dst_unused:UNUSED_PAD src0_sel:DWORD src1_sel:WORD_1
	v_fma_f16 v35, v35, v75, v38
	v_pack_b32_f16 v35, v37, v35
	v_add_u32_e32 v37, 0xe00, v41
	ds_read2_b32 v[70:71], v37 offset0:39 offset1:149
	v_lshrrev_b32_e32 v38, 16, v36
	s_waitcnt vmcnt(3)
	v_mul_f16_sdwa v72, v38, v76 dst_sel:DWORD dst_unused:UNUSED_PAD src0_sel:DWORD src1_sel:WORD_1
	v_fma_f16 v72, v36, v76, -v72
	v_mul_f16_sdwa v36, v36, v76 dst_sel:DWORD dst_unused:UNUSED_PAD src0_sel:DWORD src1_sel:WORD_1
	v_fma_f16 v36, v38, v76, v36
	s_waitcnt lgkmcnt(0)
	v_lshrrev_b32_e32 v38, 16, v70
	v_pack_b32_f16 v36, v72, v36
	s_waitcnt vmcnt(2)
	v_mul_f16_sdwa v72, v38, v77 dst_sel:DWORD dst_unused:UNUSED_PAD src0_sel:DWORD src1_sel:WORD_1
	v_fma_f16 v72, v70, v77, -v72
	v_mul_f16_sdwa v70, v70, v77 dst_sel:DWORD dst_unused:UNUSED_PAD src0_sel:DWORD src1_sel:WORD_1
	v_fma_f16 v38, v38, v77, v70
	v_pack_b32_f16 v38, v72, v38
	ds_write2_b32 v32, v35, v38 offset0:57 offset1:167
	v_lshrrev_b32_e32 v32, 16, v69
	s_waitcnt vmcnt(1)
	v_mul_f16_sdwa v35, v32, v78 dst_sel:DWORD dst_unused:UNUSED_PAD src0_sel:DWORD src1_sel:WORD_1
	v_mul_f16_sdwa v38, v69, v78 dst_sel:DWORD dst_unused:UNUSED_PAD src0_sel:DWORD src1_sel:WORD_1
	v_fma_f16 v35, v69, v78, -v35
	v_fma_f16 v32, v32, v78, v38
	v_pack_b32_f16 v32, v35, v32
	v_add_u32_e32 v35, 0x400, v41
	ds_write2_b32 v35, v36, v32 offset0:74 offset1:184
	v_lshrrev_b32_e32 v32, 16, v71
	s_waitcnt vmcnt(0)
	v_mul_f16_sdwa v35, v32, v79 dst_sel:DWORD dst_unused:UNUSED_PAD src0_sel:DWORD src1_sel:WORD_1
	v_mul_f16_sdwa v36, v71, v79 dst_sel:DWORD dst_unused:UNUSED_PAD src0_sel:DWORD src1_sel:WORD_1
	v_fma_f16 v35, v71, v79, -v35
	v_fma_f16 v32, v32, v79, v36
	v_pack_b32_f16 v32, v35, v32
	ds_write_b32 v41, v32 offset:4180
	s_and_saveexec_b64 s[4:5], s[0:1]
	s_cbranch_execz .LBB0_13
; %bb.12:
	global_load_dword v32, v[29:30], off offset:2200
	v_add_co_u32_e32 v29, vcc, 0x1000, v29
	v_addc_co_u32_e32 v30, vcc, 0, v30, vcc
	global_load_dword v29, v[29:30], off offset:524
	ds_read_b32 v30, v41 offset:2200
	ds_read_b32 v35, v41 offset:4620
	s_waitcnt lgkmcnt(1)
	v_lshrrev_b32_e32 v36, 16, v30
	s_waitcnt lgkmcnt(0)
	v_lshrrev_b32_e32 v38, 16, v35
	s_waitcnt vmcnt(1)
	v_mul_f16_sdwa v69, v36, v32 dst_sel:DWORD dst_unused:UNUSED_PAD src0_sel:DWORD src1_sel:WORD_1
	v_mul_f16_sdwa v70, v30, v32 dst_sel:DWORD dst_unused:UNUSED_PAD src0_sel:DWORD src1_sel:WORD_1
	v_fma_f16 v30, v30, v32, -v69
	v_fma_f16 v32, v36, v32, v70
	v_pack_b32_f16 v30, v30, v32
	s_waitcnt vmcnt(0)
	v_mul_f16_sdwa v32, v38, v29 dst_sel:DWORD dst_unused:UNUSED_PAD src0_sel:DWORD src1_sel:WORD_1
	v_mul_f16_sdwa v36, v35, v29 dst_sel:DWORD dst_unused:UNUSED_PAD src0_sel:DWORD src1_sel:WORD_1
	ds_write_b32 v41, v30 offset:2200
	v_fma_f16 v30, v35, v29, -v32
	v_fma_f16 v29, v38, v29, v36
	v_pack_b32_f16 v29, v30, v29
	ds_write_b32 v41, v29 offset:4620
.LBB0_13:
	s_or_b64 exec, exec, s[4:5]
	s_waitcnt lgkmcnt(0)
	s_barrier
	ds_read2_b32 v[35:36], v41 offset1:110
	ds_read2_b32 v[31:32], v31 offset0:56 offset1:221
	ds_read2_b32 v[29:30], v34 offset0:75 offset1:185
	;; [unrolled: 1-line block ×4, first 2 shown]
	v_add_u32_e32 v70, 0xa50, v56
	v_add_u32_e32 v69, 0xdc0, v56
	s_and_saveexec_b64 s[4:5], s[0:1]
	s_cbranch_execz .LBB0_15
; %bb.14:
	ds_read_b32 v67, v41 offset:2200
	ds_read_b32 v65, v41 offset:4620
	s_waitcnt lgkmcnt(1)
	v_lshrrev_b32_e32 v68, 16, v67
	s_waitcnt lgkmcnt(0)
	v_lshrrev_b32_e32 v66, 16, v65
.LBB0_15:
	s_or_b64 exec, exec, s[4:5]
	s_waitcnt lgkmcnt(3)
	v_pk_add_f16 v72, v35, v32 neg_lo:[0,1] neg_hi:[0,1]
	s_waitcnt lgkmcnt(2)
	v_pk_add_f16 v73, v36, v29 neg_lo:[0,1] neg_hi:[0,1]
	v_pk_fma_f16 v71, v35, 2.0, v72 op_sel_hi:[1,0,1] neg_lo:[0,0,1] neg_hi:[0,0,1]
	s_waitcnt lgkmcnt(1)
	v_pk_add_f16 v74, v33, v30 neg_lo:[0,1] neg_hi:[0,1]
	s_waitcnt lgkmcnt(0)
	v_pk_add_f16 v37, v34, v37 neg_lo:[0,1] neg_hi:[0,1]
	v_pk_add_f16 v32, v31, v38 neg_lo:[0,1] neg_hi:[0,1]
	v_sub_f16_e32 v30, v67, v65
	v_sub_f16_e32 v65, v68, v66
	s_barrier
	ds_write_b64 v40, v[71:72]
	v_pk_fma_f16 v72, v36, 2.0, v73 op_sel_hi:[1,0,1] neg_lo:[0,0,1] neg_hi:[0,0,1]
	v_fma_f16 v29, v67, 2.0, -v30
	v_fma_f16 v56, v68, 2.0, -v65
	ds_write_b64 v54, v[72:73]
	v_pk_fma_f16 v73, v33, 2.0, v74 op_sel_hi:[1,0,1] neg_lo:[0,0,1] neg_hi:[0,0,1]
	v_pk_fma_f16 v36, v34, 2.0, v37 op_sel_hi:[1,0,1] neg_lo:[0,0,1] neg_hi:[0,0,1]
	;; [unrolled: 1-line block ×3, first 2 shown]
	ds_write_b64 v55, v[73:74]
	ds_write_b64 v70, v[36:37]
	;; [unrolled: 1-line block ×3, first 2 shown]
	s_and_saveexec_b64 s[4:5], s[0:1]
	s_cbranch_execz .LBB0_17
; %bb.16:
	s_mov_b32 s6, 0x5040100
	v_perm_b32 v32, v65, v30, s6
	v_perm_b32 v31, v56, v29, s6
	ds_write_b64 v39, v[31:32]
.LBB0_17:
	s_or_b64 exec, exec, s[4:5]
	v_add_u32_e32 v33, 0x200, v41
	v_add_u32_e32 v35, 0x600, v41
	;; [unrolled: 1-line block ×4, first 2 shown]
	s_waitcnt lgkmcnt(0)
	s_barrier
	ds_read2_b32 v[31:32], v41 offset1:110
	ds_read2_b32 v[33:34], v33 offset0:114 offset1:224
	ds_read2_b32 v[35:36], v35 offset0:100 offset1:210
	;; [unrolled: 1-line block ×4, first 2 shown]
	s_and_saveexec_b64 s[4:5], s[2:3]
	s_cbranch_execz .LBB0_19
; %bb.18:
	v_add_u32_e32 v23, 0x340, v41
	ds_read2_b32 v[29:30], v23 offset0:12 offset1:254
	v_add_u32_e32 v23, 0xb00, v41
	ds_read2_b32 v[23:24], v23 offset1:242
	ds_read_b32 v59, v41 offset:4752
	s_waitcnt lgkmcnt(2)
	v_lshrrev_b32_e32 v56, 16, v29
	v_lshrrev_b32_e32 v65, 16, v30
	s_waitcnt lgkmcnt(1)
	v_lshrrev_b32_e32 v61, 16, v23
	v_lshrrev_b32_e32 v62, 16, v24
	s_waitcnt lgkmcnt(0)
	v_lshrrev_b32_e32 v60, 16, v59
.LBB0_19:
	s_or_b64 exec, exec, s[4:5]
	s_waitcnt lgkmcnt(3)
	v_lshrrev_b32_e32 v55, 16, v33
	v_mul_f16_sdwa v74, v0, v55 dst_sel:DWORD dst_unused:UNUSED_PAD src0_sel:WORD_1 src1_sel:DWORD
	s_waitcnt lgkmcnt(2)
	v_lshrrev_b32_e32 v66, 16, v35
	v_fma_f16 v74, v0, v33, v74
	v_mul_f16_sdwa v33, v0, v33 dst_sel:DWORD dst_unused:UNUSED_PAD src0_sel:WORD_1 src1_sel:DWORD
	v_fma_f16 v33, v0, v55, -v33
	v_mul_f16_sdwa v55, v1, v66 dst_sel:DWORD dst_unused:UNUSED_PAD src0_sel:WORD_1 src1_sel:DWORD
	s_waitcnt lgkmcnt(1)
	v_lshrrev_b32_e32 v67, 16, v37
	v_fma_f16 v55, v1, v35, v55
	v_mul_f16_sdwa v35, v1, v35 dst_sel:DWORD dst_unused:UNUSED_PAD src0_sel:WORD_1 src1_sel:DWORD
	v_fma_f16 v35, v1, v66, -v35
	;; [unrolled: 6-line block ×3, first 2 shown]
	v_mul_f16_sdwa v67, v3, v68 dst_sel:DWORD dst_unused:UNUSED_PAD src0_sel:WORD_1 src1_sel:DWORD
	v_lshrrev_b32_e32 v70, 16, v34
	v_fma_f16 v67, v3, v39, v67
	v_mul_f16_sdwa v39, v3, v39 dst_sel:DWORD dst_unused:UNUSED_PAD src0_sel:WORD_1 src1_sel:DWORD
	v_fma_f16 v39, v3, v68, -v39
	v_mul_f16_sdwa v68, v0, v70 dst_sel:DWORD dst_unused:UNUSED_PAD src0_sel:WORD_1 src1_sel:DWORD
	v_lshrrev_b32_e32 v71, 16, v36
	v_fma_f16 v68, v0, v34, v68
	v_mul_f16_sdwa v34, v0, v34 dst_sel:DWORD dst_unused:UNUSED_PAD src0_sel:WORD_1 src1_sel:DWORD
	v_fma_f16 v34, v0, v70, -v34
	;; [unrolled: 5-line block ×3, first 2 shown]
	v_mul_f16_sdwa v71, v2, v72 dst_sel:DWORD dst_unused:UNUSED_PAD src0_sel:WORD_1 src1_sel:DWORD
	v_add_f16_e32 v75, v55, v66
	v_lshrrev_b32_e32 v73, 16, v40
	v_fma_f16 v71, v2, v38, v71
	v_mul_f16_sdwa v38, v2, v38 dst_sel:DWORD dst_unused:UNUSED_PAD src0_sel:WORD_1 src1_sel:DWORD
	v_fma_f16 v75, v75, -0.5, v31
	v_sub_f16_e32 v76, v33, v39
	s_mov_b32 s7, 0xbb9c
	s_movk_i32 s15, 0x3b9c
	v_fma_f16 v38, v2, v72, -v38
	v_mul_f16_sdwa v72, v3, v73 dst_sel:DWORD dst_unused:UNUSED_PAD src0_sel:WORD_1 src1_sel:DWORD
	v_fma_f16 v77, v76, s7, v75
	v_sub_f16_e32 v78, v35, v37
	s_mov_b32 s6, 0xb8b4
	v_sub_f16_e32 v79, v74, v55
	v_sub_f16_e32 v80, v67, v66
	v_fma_f16 v75, v76, s15, v75
	s_movk_i32 s16, 0x38b4
	v_fma_f16 v72, v3, v40, v72
	v_mul_f16_sdwa v40, v3, v40 dst_sel:DWORD dst_unused:UNUSED_PAD src0_sel:WORD_1 src1_sel:DWORD
	v_fma_f16 v77, v78, s6, v77
	v_add_f16_e32 v79, v79, v80
	s_movk_i32 s14, 0x34f2
	v_fma_f16 v75, v78, s16, v75
	v_fma_f16 v40, v3, v73, -v40
	v_add_f16_e32 v73, v31, v74
	v_fma_f16 v77, v79, s14, v77
	v_fma_f16 v75, v79, s14, v75
	v_add_f16_e32 v79, v74, v67
	v_lshrrev_b32_e32 v54, 16, v31
	v_add_f16_e32 v73, v73, v55
	v_fma_f16 v31, v79, -0.5, v31
	v_add_f16_e32 v73, v73, v66
	v_fma_f16 v79, v78, s15, v31
	v_fma_f16 v31, v78, s7, v31
	v_add_f16_e32 v78, v35, v37
	v_add_f16_e32 v73, v73, v67
	v_sub_f16_e32 v80, v55, v74
	v_sub_f16_e32 v81, v66, v67
	v_fma_f16 v78, v78, -0.5, v54
	v_sub_f16_e32 v67, v74, v67
	v_fma_f16 v79, v76, s6, v79
	v_add_f16_e32 v80, v80, v81
	v_fma_f16 v31, v76, s16, v31
	v_fma_f16 v74, v67, s15, v78
	v_sub_f16_e32 v55, v55, v66
	v_fma_f16 v79, v80, s14, v79
	v_fma_f16 v31, v80, s14, v31
	;; [unrolled: 1-line block ×3, first 2 shown]
	v_sub_f16_e32 v74, v33, v35
	v_sub_f16_e32 v80, v39, v37
	v_fma_f16 v78, v67, s7, v78
	v_add_f16_e32 v76, v54, v33
	v_add_f16_e32 v74, v74, v80
	v_fma_f16 v78, v55, s6, v78
	v_add_f16_e32 v76, v76, v35
	v_fma_f16 v66, v74, s14, v66
	v_fma_f16 v74, v74, s14, v78
	v_add_f16_e32 v78, v33, v39
	v_add_f16_e32 v76, v76, v37
	v_fma_f16 v54, v78, -0.5, v54
	v_add_f16_e32 v76, v76, v39
	v_fma_f16 v78, v55, s7, v54
	v_sub_f16_e32 v33, v35, v33
	v_sub_f16_e32 v35, v37, v39
	v_add_f16_e32 v39, v70, v71
	v_fma_f16 v78, v67, s16, v78
	v_add_f16_e32 v33, v33, v35
	v_fma_f16 v37, v55, s15, v54
	v_fma_f16 v39, v39, -0.5, v32
	v_sub_f16_e32 v54, v34, v40
	v_fma_f16 v35, v33, s14, v78
	v_fma_f16 v37, v67, s6, v37
	;; [unrolled: 1-line block ×3, first 2 shown]
	v_sub_f16_e32 v67, v36, v38
	v_sub_f16_e32 v78, v68, v70
	v_sub_f16_e32 v80, v72, v71
	v_fma_f16 v39, v54, s15, v39
	v_fma_f16 v55, v67, s6, v55
	v_add_f16_e32 v78, v78, v80
	v_fma_f16 v39, v67, s16, v39
	v_fma_f16 v55, v78, s14, v55
	;; [unrolled: 1-line block ×3, first 2 shown]
	v_add_f16_e32 v78, v68, v72
	v_lshrrev_b32_e32 v69, 16, v32
	v_fma_f16 v33, v33, s14, v37
	v_add_f16_e32 v37, v32, v68
	v_fma_f16 v32, v78, -0.5, v32
	v_add_f16_e32 v37, v37, v70
	v_fma_f16 v78, v67, s15, v32
	v_fma_f16 v32, v67, s7, v32
	v_add_f16_e32 v67, v36, v38
	v_add_f16_e32 v37, v37, v71
	v_sub_f16_e32 v80, v70, v68
	v_sub_f16_e32 v81, v71, v72
	v_fma_f16 v67, v67, -0.5, v69
	v_sub_f16_e32 v68, v68, v72
	v_add_f16_e32 v37, v37, v72
	v_fma_f16 v78, v54, s6, v78
	v_add_f16_e32 v80, v80, v81
	v_fma_f16 v32, v54, s16, v32
	v_fma_f16 v72, v68, s15, v67
	v_sub_f16_e32 v70, v70, v71
	v_fma_f16 v78, v80, s14, v78
	v_fma_f16 v32, v80, s14, v32
	;; [unrolled: 1-line block ×3, first 2 shown]
	v_sub_f16_e32 v72, v34, v36
	v_sub_f16_e32 v80, v40, v38
	v_fma_f16 v67, v68, s7, v67
	v_add_f16_e32 v72, v72, v80
	v_fma_f16 v67, v70, s6, v67
	v_add_f16_e32 v54, v69, v34
	v_fma_f16 v71, v72, s14, v71
	v_fma_f16 v67, v72, s14, v67
	v_add_f16_e32 v72, v34, v40
	v_add_f16_e32 v54, v54, v36
	v_fma_f16 v69, v72, -0.5, v69
	v_add_f16_e32 v54, v54, v38
	v_fma_f16 v72, v70, s7, v69
	v_sub_f16_e32 v34, v36, v34
	v_sub_f16_e32 v36, v38, v40
	v_fma_f16 v38, v70, s15, v69
	v_pack_b32_f16 v35, v79, v35
	v_pack_b32_f16 v31, v31, v33
	v_add_f16_e32 v54, v54, v40
	v_fma_f16 v72, v68, s16, v72
	v_add_f16_e32 v34, v34, v36
	v_fma_f16 v38, v68, s6, v38
	s_barrier
	ds_write2_b32 v57, v35, v31 offset0:4 offset1:6
	v_pack_b32_f16 v31, v75, v74
	v_fma_f16 v36, v34, s14, v72
	v_fma_f16 v34, v34, s14, v38
	v_pack_b32_f16 v38, v73, v76
	v_pack_b32_f16 v40, v77, v66
	ds_write_b32 v57, v31 offset:32
	v_pack_b32_f16 v31, v37, v54
	v_pack_b32_f16 v33, v55, v71
	ds_write2_b32 v57, v38, v40 offset1:2
	ds_write2_b32 v63, v31, v33 offset1:2
	v_pack_b32_f16 v31, v78, v36
	v_pack_b32_f16 v32, v32, v34
	ds_write2_b32 v63, v31, v32 offset0:4 offset1:6
	v_pack_b32_f16 v31, v39, v67
	ds_write_b32 v63, v31 offset:32
	s_and_saveexec_b64 s[4:5], s[2:3]
	s_cbranch_execz .LBB0_21
; %bb.20:
	v_mul_f16_sdwa v31, v0, v30 dst_sel:DWORD dst_unused:UNUSED_PAD src0_sel:WORD_1 src1_sel:DWORD
	v_mul_f16_sdwa v32, v1, v23 dst_sel:DWORD dst_unused:UNUSED_PAD src0_sel:WORD_1 src1_sel:DWORD
	;; [unrolled: 1-line block ×4, first 2 shown]
	v_fma_f16 v31, v0, v65, -v31
	v_fma_f16 v32, v1, v61, -v32
	;; [unrolled: 1-line block ×4, first 2 shown]
	v_sub_f16_e32 v33, v31, v32
	v_sub_f16_e32 v36, v34, v35
	v_add_f16_e32 v33, v36, v33
	v_mul_f16_sdwa v36, v1, v61 dst_sel:DWORD dst_unused:UNUSED_PAD src0_sel:WORD_1 src1_sel:DWORD
	v_fma_f16 v1, v1, v23, v36
	v_mul_f16_sdwa v23, v2, v62 dst_sel:DWORD dst_unused:UNUSED_PAD src0_sel:WORD_1 src1_sel:DWORD
	v_fma_f16 v2, v2, v24, v23
	;; [unrolled: 2-line block ×4, first 2 shown]
	v_sub_f16_e32 v37, v0, v1
	v_sub_f16_e32 v38, v3, v2
	v_add_f16_e32 v57, v29, v0
	v_sub_f16_e32 v23, v1, v2
	v_sub_f16_e32 v24, v0, v3
	v_add_f16_e32 v37, v38, v37
	v_add_f16_e32 v38, v1, v2
	;; [unrolled: 1-line block ×4, first 2 shown]
	v_sub_f16_e32 v1, v1, v0
	v_add_f16_e32 v0, v3, v0
	v_add_f16_e32 v30, v32, v35
	v_sub_f16_e32 v39, v31, v34
	v_sub_f16_e32 v54, v32, v35
	v_add_f16_e32 v55, v32, v55
	v_add_f16_e32 v57, v2, v57
	v_sub_f16_e32 v32, v32, v31
	v_add_f16_e32 v31, v34, v31
	v_sub_f16_e32 v2, v2, v3
	v_fma_f16 v0, v0, -0.5, v29
	v_add_f16_e32 v55, v35, v55
	v_fma_f16 v31, v31, -0.5, v56
	v_add_f16_e32 v1, v2, v1
	v_fma_f16 v2, v54, s7, v0
	v_fma_f16 v0, v54, s15, v0
	v_fma_f16 v30, v30, -0.5, v56
	v_fma_f16 v38, v38, -0.5, v29
	v_add_f16_e32 v55, v34, v55
	v_sub_f16_e32 v35, v35, v34
	v_fma_f16 v34, v23, s15, v31
	v_fma_f16 v31, v23, s7, v31
	;; [unrolled: 1-line block ×6, first 2 shown]
	v_add_f16_e32 v57, v3, v57
	v_add_f16_e32 v32, v35, v32
	v_fma_f16 v34, v24, s6, v34
	v_fma_f16 v31, v24, s16, v31
	;; [unrolled: 1-line block ×6, first 2 shown]
	v_mul_u32_u24_e32 v3, 10, v58
	v_fma_f16 v36, v23, s16, v36
	v_fma_f16 v40, v54, s6, v40
	;; [unrolled: 1-line block ×6, first 2 shown]
	v_or_b32_e32 v3, v3, v53
	v_fma_f16 v36, v33, s14, v36
	v_fma_f16 v40, v37, s14, v40
	;; [unrolled: 1-line block ×4, first 2 shown]
	v_lshlrev_b32_e32 v3, 2, v3
	v_pack_b32_f16 v0, v0, v31
	v_pack_b32_f16 v2, v2, v34
	;; [unrolled: 1-line block ×4, first 2 shown]
	ds_write2_b32 v3, v0, v2 offset0:4 offset1:6
	v_pack_b32_f16 v0, v1, v23
	ds_write2_b32 v3, v24, v29 offset1:2
	ds_write_b32 v3, v0 offset:32
.LBB0_21:
	s_or_b64 exec, exec, s[4:5]
	s_waitcnt lgkmcnt(0)
	s_barrier
	ds_read2_b32 v[29:30], v41 offset1:110
	v_add_u32_e32 v3, 0x200, v41
	ds_read2_b32 v[31:32], v3 offset0:92 offset1:202
	v_add_u32_e32 v0, 0x600, v41
	ds_read2_b32 v[33:34], v0 offset0:56 offset1:166
	s_waitcnt lgkmcnt(2)
	v_lshrrev_b32_e32 v2, 16, v30
	v_add_u32_e32 v23, 0xa00, v41
	ds_read2_b32 v[35:36], v23 offset0:20 offset1:130
	v_mul_f16_sdwa v60, v4, v2 dst_sel:DWORD dst_unused:UNUSED_PAD src0_sel:WORD_1 src1_sel:DWORD
	s_waitcnt lgkmcnt(2)
	v_lshrrev_b32_e32 v24, 16, v31
	v_add_u32_e32 v1, 0xc00, v41
	v_fma_f16 v60, v4, v30, v60
	v_mul_f16_sdwa v30, v4, v30 dst_sel:DWORD dst_unused:UNUSED_PAD src0_sel:WORD_1 src1_sel:DWORD
	v_lshrrev_b32_e32 v39, 16, v32
	ds_read2_b32 v[37:38], v1 offset0:112 offset1:222
	v_fma_f16 v2, v4, v2, -v30
	v_mul_f16_sdwa v4, v5, v24 dst_sel:DWORD dst_unused:UNUSED_PAD src0_sel:WORD_1 src1_sel:DWORD
	v_mul_f16_sdwa v30, v5, v31 dst_sel:DWORD dst_unused:UNUSED_PAD src0_sel:WORD_1 src1_sel:DWORD
	s_waitcnt lgkmcnt(2)
	v_lshrrev_b32_e32 v40, 16, v33
	v_fma_f16 v4, v5, v31, v4
	v_fma_f16 v5, v5, v24, -v30
	v_mul_f16_sdwa v24, v6, v39 dst_sel:DWORD dst_unused:UNUSED_PAD src0_sel:WORD_1 src1_sel:DWORD
	v_mul_f16_sdwa v30, v6, v32 dst_sel:DWORD dst_unused:UNUSED_PAD src0_sel:WORD_1 src1_sel:DWORD
	v_lshrrev_b32_e32 v53, 16, v34
	ds_read_b32 v54, v41 offset:4400
	v_fma_f16 v24, v6, v32, v24
	v_fma_f16 v6, v6, v39, -v30
	v_mul_f16_sdwa v30, v7, v40 dst_sel:DWORD dst_unused:UNUSED_PAD src0_sel:WORD_1 src1_sel:DWORD
	v_mul_f16_sdwa v31, v7, v33 dst_sel:DWORD dst_unused:UNUSED_PAD src0_sel:WORD_1 src1_sel:DWORD
	s_waitcnt lgkmcnt(2)
	v_lshrrev_b32_e32 v55, 16, v35
	v_fma_f16 v30, v7, v33, v30
	v_fma_f16 v7, v7, v40, -v31
	v_mul_f16_sdwa v31, v8, v53 dst_sel:DWORD dst_unused:UNUSED_PAD src0_sel:WORD_1 src1_sel:DWORD
	v_mul_f16_sdwa v32, v8, v34 dst_sel:DWORD dst_unused:UNUSED_PAD src0_sel:WORD_1 src1_sel:DWORD
	v_lshrrev_b32_e32 v56, 16, v36
	v_fma_f16 v31, v8, v34, v31
	v_fma_f16 v8, v8, v53, -v32
	v_mul_f16_sdwa v32, v9, v55 dst_sel:DWORD dst_unused:UNUSED_PAD src0_sel:WORD_1 src1_sel:DWORD
	v_mul_f16_sdwa v33, v9, v35 dst_sel:DWORD dst_unused:UNUSED_PAD src0_sel:WORD_1 src1_sel:DWORD
	s_waitcnt lgkmcnt(1)
	v_lshrrev_b32_e32 v57, 16, v37
	v_fma_f16 v32, v9, v35, v32
	v_fma_f16 v9, v9, v55, -v33
	v_mul_f16_sdwa v33, v10, v56 dst_sel:DWORD dst_unused:UNUSED_PAD src0_sel:WORD_1 src1_sel:DWORD
	v_mul_f16_sdwa v34, v10, v36 dst_sel:DWORD dst_unused:UNUSED_PAD src0_sel:WORD_1 src1_sel:DWORD
	v_lshrrev_b32_e32 v58, 16, v38
	v_fma_f16 v33, v10, v36, v33
	v_fma_f16 v10, v10, v56, -v34
	v_mul_f16_sdwa v34, v11, v57 dst_sel:DWORD dst_unused:UNUSED_PAD src0_sel:WORD_1 src1_sel:DWORD
	v_mul_f16_sdwa v35, v11, v37 dst_sel:DWORD dst_unused:UNUSED_PAD src0_sel:WORD_1 src1_sel:DWORD
	s_waitcnt lgkmcnt(0)
	v_lshrrev_b32_e32 v59, 16, v54
	v_fma_f16 v34, v11, v37, v34
	v_fma_f16 v11, v11, v57, -v35
	v_mul_f16_sdwa v35, v25, v58 dst_sel:DWORD dst_unused:UNUSED_PAD src0_sel:WORD_1 src1_sel:DWORD
	v_mul_f16_sdwa v36, v25, v38 dst_sel:DWORD dst_unused:UNUSED_PAD src0_sel:WORD_1 src1_sel:DWORD
	v_fma_f16 v35, v25, v38, v35
	v_fma_f16 v25, v25, v58, -v36
	v_mul_f16_sdwa v36, v26, v59 dst_sel:DWORD dst_unused:UNUSED_PAD src0_sel:WORD_1 src1_sel:DWORD
	v_mul_f16_sdwa v37, v26, v54 dst_sel:DWORD dst_unused:UNUSED_PAD src0_sel:WORD_1 src1_sel:DWORD
	v_fma_f16 v36, v26, v54, v36
	v_fma_f16 v26, v26, v59, -v37
	v_add_f16_e32 v37, v29, v60
	v_add_f16_sdwa v38, v29, v2 dst_sel:DWORD dst_unused:UNUSED_PAD src0_sel:WORD_1 src1_sel:DWORD
	v_add_f16_e32 v37, v37, v4
	v_add_f16_e32 v38, v38, v5
	;; [unrolled: 1-line block ×17, first 2 shown]
	v_sub_f16_e32 v2, v2, v26
	v_add_f16_e32 v37, v37, v36
	v_add_f16_e32 v38, v38, v26
	;; [unrolled: 1-line block ×3, first 2 shown]
	v_sub_f16_e32 v36, v60, v36
	s_mov_b32 s7, 0xb853
	v_mul_f16_e32 v26, 0xb853, v2
	s_movk_i32 s14, 0x3abb
	v_mul_f16_e32 v54, 0x3abb, v40
	s_movk_i32 s15, 0x3853
	s_mov_b32 s3, 0xbb47
	v_mul_f16_e32 v56, 0xbb47, v2
	s_movk_i32 s4, 0x36a6
	v_mul_f16_e32 v58, 0x36a6, v40
	s_movk_i32 s5, 0x3b47
	s_mov_b32 s2, 0xbbeb
	v_mul_f16_e32 v60, 0xbbeb, v2
	s_mov_b32 s6, 0xb08e
	v_mul_f16_e32 v62, 0xb08e, v40
	s_movk_i32 s16, 0x3beb
	s_mov_b32 s17, 0xba0c
	v_mul_f16_e32 v65, 0xba0c, v2
	v_mul_f16_e32 v67, 0xb93d, v40
	s_movk_i32 s19, 0x3a0c
	s_mov_b32 s20, 0xb482
	v_mul_f16_e32 v2, 0xb482, v2
	s_mov_b32 s21, 0xbbad
	v_mul_f16_e32 v40, 0xbbad, v40
	s_movk_i32 s22, 0x3482
	v_fma_f16 v53, v39, s14, v26
	v_fma_f16 v55, v36, s15, v54
	v_fma_f16 v26, v39, s14, -v26
	v_fma_f16 v54, v36, s7, v54
	v_fma_f16 v57, v39, s4, v56
	v_fma_f16 v59, v36, s5, v58
	v_fma_f16 v56, v39, s4, -v56
	v_fma_f16 v58, v36, s3, v58
	;; [unrolled: 4-line block ×5, first 2 shown]
	v_add_f16_e32 v39, v5, v25
	v_sub_f16_e32 v5, v5, v25
	v_add_f16_e32 v53, v29, v53
	v_add_f16_sdwa v55, v29, v55 dst_sel:DWORD dst_unused:UNUSED_PAD src0_sel:WORD_1 src1_sel:DWORD
	v_add_f16_e32 v26, v29, v26
	v_add_f16_sdwa v54, v29, v54 dst_sel:DWORD dst_unused:UNUSED_PAD src0_sel:WORD_1 src1_sel:DWORD
	;; [unrolled: 2-line block ×10, first 2 shown]
	v_add_f16_e32 v36, v4, v35
	v_mul_f16_e32 v25, 0xbb47, v5
	v_sub_f16_e32 v4, v4, v35
	v_fma_f16 v35, v36, s4, v25
	v_mul_f16_e32 v40, 0x36a6, v39
	v_fma_f16 v25, v36, s4, -v25
	v_add_f16_e32 v35, v35, v53
	v_fma_f16 v53, v4, s5, v40
	v_add_f16_e32 v25, v25, v26
	v_fma_f16 v26, v4, s3, v40
	v_mul_f16_e32 v40, 0xba0c, v5
	v_add_f16_e32 v53, v53, v55
	v_add_f16_e32 v26, v26, v54
	v_fma_f16 v54, v36, s18, v40
	v_mul_f16_e32 v55, 0xb93d, v39
	v_fma_f16 v40, v36, s18, -v40
	v_add_f16_e32 v54, v54, v57
	v_fma_f16 v57, v4, s19, v55
	v_add_f16_e32 v40, v40, v56
	v_fma_f16 v55, v4, s17, v55
	v_mul_f16_e32 v56, 0x3482, v5
	v_add_f16_e32 v57, v57, v59
	v_add_f16_e32 v55, v55, v58
	;; [unrolled: 10-line block ×3, first 2 shown]
	v_fma_f16 v62, v36, s6, v60
	v_mul_f16_e32 v63, 0xb08e, v39
	v_add_f16_e32 v62, v62, v66
	v_fma_f16 v66, v4, s2, v63
	v_fma_f16 v63, v4, s16, v63
	v_mul_f16_e32 v39, 0x3abb, v39
	v_fma_f16 v60, v36, s6, -v60
	v_add_f16_e32 v63, v63, v67
	v_mul_f16_e32 v5, 0x3853, v5
	v_fma_f16 v67, v4, s7, v39
	v_fma_f16 v4, v4, s15, v39
	v_add_f16_e32 v60, v60, v65
	v_fma_f16 v65, v36, s14, v5
	v_fma_f16 v5, v36, s14, -v5
	v_add_f16_e32 v4, v4, v29
	v_add_f16_e32 v29, v6, v11
	v_sub_f16_e32 v6, v6, v11
	v_add_f16_e32 v2, v5, v2
	v_add_f16_e32 v5, v24, v34
	v_mul_f16_e32 v11, 0xbbeb, v6
	v_sub_f16_e32 v24, v24, v34
	v_fma_f16 v34, v5, s6, v11
	v_add_f16_e32 v34, v34, v35
	v_mul_f16_e32 v35, 0xb08e, v29
	v_fma_f16 v11, v5, s6, -v11
	v_add_f16_e32 v11, v11, v25
	v_fma_f16 v25, v24, s2, v35
	v_add_f16_e32 v25, v25, v26
	v_mul_f16_e32 v26, 0x3482, v6
	v_fma_f16 v36, v24, s16, v35
	v_fma_f16 v35, v5, s21, v26
	v_fma_f16 v26, v5, s21, -v26
	v_mul_f16_e32 v39, 0xbbad, v29
	v_add_f16_e32 v26, v26, v40
	v_mul_f16_e32 v40, 0x3b47, v6
	v_add_f16_e32 v36, v36, v53
	v_add_f16_e32 v35, v35, v54
	v_fma_f16 v53, v24, s20, v39
	v_fma_f16 v39, v24, s22, v39
	;; [unrolled: 1-line block ×3, first 2 shown]
	v_fma_f16 v40, v5, s4, -v40
	v_add_f16_e32 v39, v39, v55
	v_mul_f16_e32 v55, 0x36a6, v29
	v_add_f16_e32 v40, v40, v56
	v_mul_f16_e32 v56, 0xb853, v6
	v_add_f16_e32 v53, v53, v57
	v_add_f16_e32 v54, v54, v58
	v_fma_f16 v57, v24, s3, v55
	v_fma_f16 v55, v24, s5, v55
	;; [unrolled: 1-line block ×3, first 2 shown]
	v_fma_f16 v56, v5, s14, -v56
	v_mul_f16_e32 v6, 0xba0c, v6
	v_add_f16_e32 v55, v55, v59
	v_mul_f16_e32 v59, 0x3abb, v29
	v_add_f16_e32 v56, v56, v60
	v_fma_f16 v60, v5, s18, v6
	v_mul_f16_e32 v29, 0xb93d, v29
	v_fma_f16 v5, v5, s18, -v6
	v_add_f16_e32 v2, v5, v2
	v_fma_f16 v5, v24, s17, v29
	v_add_f16_e32 v6, v7, v10
	v_sub_f16_e32 v7, v7, v10
	v_add_f16_e32 v4, v5, v4
	v_add_f16_e32 v5, v30, v33
	v_mul_f16_e32 v10, 0xba0c, v7
	v_add_f16_e32 v57, v57, v61
	v_add_f16_e32 v58, v58, v62
	v_fma_f16 v61, v24, s15, v59
	v_fma_f16 v59, v24, s7, v59
	;; [unrolled: 1-line block ×3, first 2 shown]
	v_sub_f16_e32 v24, v30, v33
	v_fma_f16 v29, v5, s18, v10
	v_mul_f16_e32 v30, 0xb93d, v6
	v_fma_f16 v10, v5, s18, -v10
	v_add_f16_e32 v10, v10, v11
	v_fma_f16 v11, v24, s17, v30
	v_add_f16_e32 v11, v11, v25
	v_mul_f16_e32 v25, 0x3beb, v7
	v_add_f16_e32 v29, v29, v34
	v_fma_f16 v33, v24, s19, v30
	v_fma_f16 v30, v5, s6, v25
	v_mul_f16_e32 v34, 0xb08e, v6
	v_fma_f16 v25, v5, s6, -v25
	v_add_f16_e32 v30, v30, v35
	v_fma_f16 v35, v24, s2, v34
	v_add_f16_e32 v25, v25, v26
	v_fma_f16 v26, v24, s16, v34
	v_mul_f16_e32 v34, 0xb853, v7
	v_add_f16_e32 v33, v33, v36
	v_fma_f16 v36, v5, s14, v34
	v_fma_f16 v34, v5, s14, -v34
	v_add_f16_e32 v26, v26, v39
	v_mul_f16_e32 v39, 0x3abb, v6
	v_add_f16_e32 v34, v34, v40
	v_mul_f16_e32 v40, 0xb482, v7
	v_add_f16_e32 v35, v35, v53
	v_add_f16_e32 v36, v36, v54
	v_fma_f16 v53, v24, s15, v39
	v_fma_f16 v39, v24, s7, v39
	;; [unrolled: 1-line block ×3, first 2 shown]
	v_fma_f16 v40, v5, s21, -v40
	v_mul_f16_e32 v7, 0x3b47, v7
	v_add_f16_e32 v39, v39, v55
	v_mul_f16_e32 v55, 0xbbad, v6
	v_add_f16_e32 v40, v40, v56
	v_fma_f16 v56, v5, s4, v7
	v_mul_f16_e32 v6, 0x36a6, v6
	v_fma_f16 v5, v5, s4, -v7
	v_add_f16_e32 v54, v54, v58
	v_fma_f16 v58, v24, s3, v6
	v_add_f16_e32 v2, v5, v2
	v_fma_f16 v5, v24, s5, v6
	v_add_f16_e32 v6, v8, v9
	v_sub_f16_e32 v8, v8, v9
	v_add_f16_e32 v4, v5, v4
	v_add_f16_e32 v5, v31, v32
	v_mul_f16_e32 v9, 0xb482, v8
	v_add_f16_e32 v53, v53, v57
	v_fma_f16 v57, v24, s22, v55
	v_fma_f16 v55, v24, s20, v55
	;; [unrolled: 1-line block ×3, first 2 shown]
	v_sub_f16_e32 v7, v31, v32
	v_add_f16_e32 v24, v24, v29
	v_mul_f16_e32 v29, 0xbbad, v6
	v_fma_f16 v9, v5, s21, -v9
	v_add_f16_e32 v9, v9, v10
	v_fma_f16 v10, v7, s20, v29
	v_add_f16_e32 v10, v10, v11
	v_mul_f16_e32 v11, 0x3853, v8
	v_fma_f16 v31, v7, s22, v29
	v_fma_f16 v29, v5, s14, v11
	v_add_f16_e32 v29, v29, v30
	v_mul_f16_e32 v30, 0x3abb, v6
	v_fma_f16 v11, v5, s14, -v11
	v_add_f16_e32 v11, v11, v25
	v_fma_f16 v25, v7, s15, v30
	v_add_f16_e32 v25, v25, v26
	v_mul_f16_e32 v26, 0xba0c, v8
	v_fma_f16 v32, v7, s7, v30
	v_fma_f16 v30, v5, s18, v26
	v_fma_f16 v26, v5, s18, -v26
	v_add_f16_e32 v31, v31, v33
	v_mul_f16_e32 v33, 0xb93d, v6
	v_add_f16_e32 v26, v26, v34
	v_mul_f16_e32 v34, 0x3b47, v8
	v_add_f16_e32 v32, v32, v35
	v_add_f16_e32 v30, v30, v36
	v_fma_f16 v35, v7, s19, v33
	v_fma_f16 v33, v7, s17, v33
	v_fma_f16 v36, v5, s4, v34
	v_fma_f16 v34, v5, s4, -v34
	v_mul_f16_e32 v8, 0xbbeb, v8
	v_add_f16_e32 v59, v59, v63
	v_add_f16_e32 v33, v33, v39
	v_mul_f16_e32 v39, 0x36a6, v6
	v_add_f16_e32 v34, v34, v40
	v_fma_f16 v40, v5, s6, v8
	v_mul_f16_e32 v6, 0xb08e, v6
	v_fma_f16 v5, v5, s6, -v8
	v_add_f16_e32 v66, v66, v68
	v_add_f16_e32 v65, v65, v69
	;; [unrolled: 1-line block ×5, first 2 shown]
	v_fma_f16 v53, v7, s3, v39
	v_fma_f16 v39, v7, s5, v39
	v_add_f16_e32 v2, v5, v2
	v_fma_f16 v5, v7, s2, v6
	v_add_f16_e32 v61, v61, v66
	v_add_f16_e32 v60, v60, v65
	;; [unrolled: 1-line block ×9, first 2 shown]
	v_fma_f16 v54, v7, s16, v6
	v_pack_b32_f16 v5, v37, v38
	v_pack_b32_f16 v6, v24, v31
	;; [unrolled: 1-line block ×4, first 2 shown]
	v_add_f16_e32 v53, v53, v57
	v_add_f16_e32 v40, v40, v56
	;; [unrolled: 1-line block ×3, first 2 shown]
	s_barrier
	ds_write2_b32 v64, v5, v6 offset1:10
	v_pack_b32_f16 v5, v29, v32
	v_pack_b32_f16 v6, v30, v35
	ds_write2_b32 v64, v2, v4 offset0:60 offset1:70
	v_pack_b32_f16 v2, v26, v33
	v_pack_b32_f16 v4, v11, v25
	ds_write2_b32 v64, v5, v6 offset0:20 offset1:30
	;; [unrolled: 3-line block ×3, first 2 shown]
	v_pack_b32_f16 v2, v9, v10
	ds_write2_b32 v64, v5, v6 offset0:40 offset1:50
	ds_write_b32 v64, v2 offset:400
	s_waitcnt lgkmcnt(0)
	s_barrier
	ds_read2_b32 v[4:5], v41 offset1:110
	ds_read2_b32 v[6:7], v3 offset0:92 offset1:202
	ds_read2_b32 v[8:9], v0 offset0:56 offset1:166
	;; [unrolled: 1-line block ×4, first 2 shown]
	s_waitcnt lgkmcnt(4)
	v_lshrrev_b32_e32 v2, 16, v5
	v_mul_f16_sdwa v38, v12, v2 dst_sel:DWORD dst_unused:UNUSED_PAD src0_sel:WORD_1 src1_sel:DWORD
	s_waitcnt lgkmcnt(3)
	v_lshrrev_b32_e32 v26, 16, v6
	v_lshrrev_b32_e32 v29, 16, v7
	v_fma_f16 v38, v12, v5, v38
	v_mul_f16_sdwa v5, v12, v5 dst_sel:DWORD dst_unused:UNUSED_PAD src0_sel:WORD_1 src1_sel:DWORD
	v_fma_f16 v2, v12, v2, -v5
	v_mul_f16_sdwa v5, v13, v26 dst_sel:DWORD dst_unused:UNUSED_PAD src0_sel:WORD_1 src1_sel:DWORD
	v_mul_f16_sdwa v12, v14, v29 dst_sel:DWORD dst_unused:UNUSED_PAD src0_sel:WORD_1 src1_sel:DWORD
	s_waitcnt lgkmcnt(2)
	v_lshrrev_b32_e32 v30, 16, v8
	v_lshrrev_b32_e32 v31, 16, v9
	v_fma_f16 v5, v13, v6, v5
	v_mul_f16_sdwa v6, v13, v6 dst_sel:DWORD dst_unused:UNUSED_PAD src0_sel:WORD_1 src1_sel:DWORD
	v_fma_f16 v12, v14, v7, v12
	v_mul_f16_sdwa v7, v14, v7 dst_sel:DWORD dst_unused:UNUSED_PAD src0_sel:WORD_1 src1_sel:DWORD
	ds_read_b32 v32, v41 offset:4400
	v_fma_f16 v6, v13, v26, -v6
	v_fma_f16 v7, v14, v29, -v7
	v_mul_f16_sdwa v13, v15, v30 dst_sel:DWORD dst_unused:UNUSED_PAD src0_sel:WORD_1 src1_sel:DWORD
	v_mul_f16_sdwa v14, v16, v31 dst_sel:DWORD dst_unused:UNUSED_PAD src0_sel:WORD_1 src1_sel:DWORD
	s_waitcnt lgkmcnt(2)
	v_lshrrev_b32_e32 v33, 16, v10
	v_lshrrev_b32_e32 v34, 16, v11
	v_fma_f16 v13, v15, v8, v13
	v_mul_f16_sdwa v8, v15, v8 dst_sel:DWORD dst_unused:UNUSED_PAD src0_sel:WORD_1 src1_sel:DWORD
	v_fma_f16 v14, v16, v9, v14
	v_mul_f16_sdwa v9, v16, v9 dst_sel:DWORD dst_unused:UNUSED_PAD src0_sel:WORD_1 src1_sel:DWORD
	v_fma_f16 v8, v15, v30, -v8
	v_fma_f16 v9, v16, v31, -v9
	v_mul_f16_sdwa v15, v17, v33 dst_sel:DWORD dst_unused:UNUSED_PAD src0_sel:WORD_1 src1_sel:DWORD
	v_mul_f16_sdwa v16, v18, v34 dst_sel:DWORD dst_unused:UNUSED_PAD src0_sel:WORD_1 src1_sel:DWORD
	s_waitcnt lgkmcnt(1)
	v_lshrrev_b32_e32 v35, 16, v24
	v_fma_f16 v15, v17, v10, v15
	v_mul_f16_sdwa v10, v17, v10 dst_sel:DWORD dst_unused:UNUSED_PAD src0_sel:WORD_1 src1_sel:DWORD
	v_fma_f16 v16, v18, v11, v16
	v_mul_f16_sdwa v11, v18, v11 dst_sel:DWORD dst_unused:UNUSED_PAD src0_sel:WORD_1 src1_sel:DWORD
	v_lshrrev_b32_e32 v36, 16, v25
	v_fma_f16 v10, v17, v33, -v10
	v_fma_f16 v11, v18, v34, -v11
	v_mul_f16_sdwa v17, v19, v35 dst_sel:DWORD dst_unused:UNUSED_PAD src0_sel:WORD_1 src1_sel:DWORD
	v_mul_f16_sdwa v18, v19, v24 dst_sel:DWORD dst_unused:UNUSED_PAD src0_sel:WORD_1 src1_sel:DWORD
	s_waitcnt lgkmcnt(0)
	v_lshrrev_b32_e32 v37, 16, v32
	v_fma_f16 v17, v19, v24, v17
	v_fma_f16 v18, v19, v35, -v18
	v_mul_f16_sdwa v19, v27, v36 dst_sel:DWORD dst_unused:UNUSED_PAD src0_sel:WORD_1 src1_sel:DWORD
	v_fma_f16 v19, v27, v25, v19
	v_mul_f16_sdwa v24, v27, v25 dst_sel:DWORD dst_unused:UNUSED_PAD src0_sel:WORD_1 src1_sel:DWORD
	v_mul_f16_sdwa v25, v28, v37 dst_sel:DWORD dst_unused:UNUSED_PAD src0_sel:WORD_1 src1_sel:DWORD
	;; [unrolled: 1-line block ×3, first 2 shown]
	v_fma_f16 v24, v27, v36, -v24
	v_fma_f16 v25, v28, v32, v25
	v_fma_f16 v26, v28, v37, -v26
	v_add_f16_e32 v27, v4, v38
	v_add_f16_sdwa v28, v4, v2 dst_sel:DWORD dst_unused:UNUSED_PAD src0_sel:WORD_1 src1_sel:DWORD
	v_add_f16_e32 v27, v27, v5
	v_add_f16_e32 v28, v28, v6
	;; [unrolled: 1-line block ×17, first 2 shown]
	v_sub_f16_e32 v2, v2, v26
	v_add_f16_e32 v27, v27, v25
	v_add_f16_e32 v28, v28, v26
	;; [unrolled: 1-line block ×3, first 2 shown]
	v_sub_f16_e32 v25, v38, v25
	v_mul_f16_e32 v26, 0xb853, v2
	v_mul_f16_e32 v32, 0x3abb, v30
	;; [unrolled: 1-line block ×10, first 2 shown]
	v_fma_f16 v31, v29, s14, v26
	v_fma_f16 v33, v25, s15, v32
	v_fma_f16 v26, v29, s14, -v26
	v_fma_f16 v32, v25, s7, v32
	v_fma_f16 v35, v29, s4, v34
	v_fma_f16 v37, v25, s5, v36
	v_fma_f16 v34, v29, s4, -v34
	v_fma_f16 v36, v25, s3, v36
	;; [unrolled: 4-line block ×5, first 2 shown]
	v_add_f16_e32 v29, v6, v24
	v_sub_f16_e32 v6, v6, v24
	v_add_f16_e32 v31, v4, v31
	v_add_f16_sdwa v33, v4, v33 dst_sel:DWORD dst_unused:UNUSED_PAD src0_sel:WORD_1 src1_sel:DWORD
	v_add_f16_e32 v26, v4, v26
	v_add_f16_sdwa v32, v4, v32 dst_sel:DWORD dst_unused:UNUSED_PAD src0_sel:WORD_1 src1_sel:DWORD
	;; [unrolled: 2-line block ×10, first 2 shown]
	v_add_f16_e32 v25, v5, v19
	v_sub_f16_e32 v5, v5, v19
	v_mul_f16_e32 v19, 0xbb47, v6
	v_fma_f16 v24, v25, s4, v19
	v_mul_f16_e32 v30, 0x36a6, v29
	v_fma_f16 v19, v25, s4, -v19
	v_add_f16_e32 v24, v24, v31
	v_fma_f16 v31, v5, s5, v30
	v_add_f16_e32 v19, v19, v26
	v_fma_f16 v26, v5, s3, v30
	v_mul_f16_e32 v30, 0xba0c, v6
	v_add_f16_e32 v31, v31, v33
	v_add_f16_e32 v26, v26, v32
	v_fma_f16 v32, v25, s18, v30
	v_mul_f16_e32 v33, 0xb93d, v29
	v_fma_f16 v30, v25, s18, -v30
	v_add_f16_e32 v32, v32, v35
	v_fma_f16 v35, v5, s19, v33
	v_add_f16_e32 v30, v30, v34
	v_fma_f16 v33, v5, s17, v33
	v_mul_f16_e32 v34, 0x3482, v6
	v_add_f16_e32 v35, v35, v37
	v_add_f16_e32 v33, v33, v36
	;; [unrolled: 10-line block ×3, first 2 shown]
	v_fma_f16 v40, v25, s6, v38
	v_mul_f16_e32 v53, 0xb08e, v29
	v_fma_f16 v38, v25, s6, -v38
	v_mul_f16_e32 v6, 0x3853, v6
	v_add_f16_e32 v40, v40, v55
	v_fma_f16 v55, v5, s2, v53
	v_add_f16_e32 v38, v38, v54
	v_fma_f16 v53, v5, s16, v53
	v_fma_f16 v54, v25, s14, v6
	v_mul_f16_e32 v29, 0x3abb, v29
	v_fma_f16 v6, v25, s14, -v6
	v_add_f16_e32 v53, v53, v56
	v_fma_f16 v56, v5, s7, v29
	v_add_f16_e32 v2, v6, v2
	v_fma_f16 v5, v5, s15, v29
	v_add_f16_e32 v6, v7, v18
	v_sub_f16_e32 v7, v7, v18
	v_add_f16_e32 v4, v5, v4
	v_add_f16_e32 v5, v12, v17
	v_sub_f16_e32 v12, v12, v17
	v_mul_f16_e32 v17, 0xbbeb, v7
	v_fma_f16 v18, v5, s6, v17
	v_add_f16_e32 v18, v18, v24
	v_mul_f16_e32 v24, 0xb08e, v6
	v_fma_f16 v17, v5, s6, -v17
	v_fma_f16 v25, v12, s16, v24
	v_add_f16_e32 v17, v17, v19
	v_fma_f16 v19, v12, s2, v24
	v_mul_f16_e32 v24, 0x3482, v7
	v_add_f16_e32 v19, v19, v26
	v_fma_f16 v26, v5, s21, v24
	v_fma_f16 v24, v5, s21, -v24
	v_mul_f16_e32 v29, 0xbbad, v6
	v_add_f16_e32 v24, v24, v30
	v_mul_f16_e32 v30, 0x3b47, v7
	v_add_f16_e32 v25, v25, v31
	v_add_f16_e32 v26, v26, v32
	v_fma_f16 v31, v12, s20, v29
	v_fma_f16 v29, v12, s22, v29
	v_fma_f16 v32, v5, s4, v30
	v_fma_f16 v30, v5, s4, -v30
	v_add_f16_e32 v29, v29, v33
	v_mul_f16_e32 v33, 0x36a6, v6
	v_add_f16_e32 v30, v30, v34
	v_mul_f16_e32 v34, 0xb853, v7
	v_add_f16_e32 v31, v31, v35
	v_add_f16_e32 v32, v32, v36
	v_fma_f16 v35, v12, s3, v33
	v_fma_f16 v33, v12, s5, v33
	;; [unrolled: 1-line block ×3, first 2 shown]
	v_fma_f16 v34, v5, s14, -v34
	v_mul_f16_e32 v7, 0xba0c, v7
	v_add_f16_e32 v33, v33, v37
	v_mul_f16_e32 v37, 0x3abb, v6
	v_add_f16_e32 v34, v34, v38
	v_fma_f16 v38, v5, s18, v7
	v_mul_f16_e32 v6, 0xb93d, v6
	v_fma_f16 v5, v5, s18, -v7
	v_add_f16_e32 v36, v36, v40
	v_fma_f16 v40, v12, s19, v6
	v_add_f16_e32 v2, v5, v2
	v_fma_f16 v5, v12, s17, v6
	v_add_f16_e32 v6, v8, v11
	v_sub_f16_e32 v8, v8, v11
	v_add_f16_e32 v4, v5, v4
	v_add_f16_e32 v5, v13, v16
	v_mul_f16_e32 v11, 0xba0c, v8
	v_add_f16_e32 v35, v35, v39
	v_fma_f16 v39, v12, s15, v37
	v_fma_f16 v37, v12, s7, v37
	;; [unrolled: 1-line block ×3, first 2 shown]
	v_fma_f16 v11, v5, s18, -v11
	v_sub_f16_e32 v7, v13, v16
	v_mul_f16_e32 v13, 0xb93d, v6
	v_add_f16_e32 v11, v11, v17
	v_mul_f16_e32 v17, 0x3beb, v8
	v_add_f16_e32 v12, v12, v18
	v_fma_f16 v16, v7, s19, v13
	v_fma_f16 v13, v7, s17, v13
	;; [unrolled: 1-line block ×3, first 2 shown]
	v_fma_f16 v17, v5, s6, -v17
	v_add_f16_e32 v13, v13, v19
	v_mul_f16_e32 v19, 0xb08e, v6
	v_add_f16_e32 v17, v17, v24
	v_mul_f16_e32 v24, 0xb853, v8
	v_add_f16_e32 v16, v16, v25
	v_add_f16_e32 v18, v18, v26
	v_fma_f16 v25, v7, s2, v19
	v_fma_f16 v19, v7, s16, v19
	;; [unrolled: 1-line block ×3, first 2 shown]
	v_fma_f16 v24, v5, s14, -v24
	v_add_f16_e32 v19, v19, v29
	v_mul_f16_e32 v29, 0x3abb, v6
	v_add_f16_e32 v24, v24, v30
	v_mul_f16_e32 v30, 0xb482, v8
	v_add_f16_e32 v25, v25, v31
	v_add_f16_e32 v26, v26, v32
	v_fma_f16 v31, v7, s15, v29
	v_fma_f16 v29, v7, s7, v29
	v_fma_f16 v32, v5, s21, v30
	v_fma_f16 v30, v5, s21, -v30
	v_mul_f16_e32 v8, 0x3b47, v8
	v_add_f16_e32 v29, v29, v33
	v_mul_f16_e32 v33, 0xbbad, v6
	v_add_f16_e32 v30, v30, v34
	v_fma_f16 v34, v5, s4, v8
	v_mul_f16_e32 v6, 0x36a6, v6
	v_fma_f16 v5, v5, s4, -v8
	v_add_f16_e32 v2, v5, v2
	v_fma_f16 v5, v7, s5, v6
	v_sub_f16_e32 v8, v9, v10
	v_add_f16_e32 v32, v32, v36
	v_fma_f16 v36, v7, s3, v6
	v_add_f16_e32 v4, v5, v4
	v_add_f16_e32 v5, v14, v15
	;; [unrolled: 1-line block ×3, first 2 shown]
	v_mul_f16_e32 v9, 0xb482, v8
	v_fma_f16 v10, v5, s21, v9
	v_add_f16_e32 v31, v31, v35
	v_fma_f16 v35, v7, s22, v33
	v_fma_f16 v33, v7, s20, v33
	v_sub_f16_e32 v7, v14, v15
	v_add_f16_e32 v10, v10, v12
	v_mul_f16_e32 v12, 0xbbad, v6
	v_fma_f16 v9, v5, s21, -v9
	v_fma_f16 v14, v7, s22, v12
	v_add_f16_e32 v9, v9, v11
	v_fma_f16 v11, v7, s20, v12
	v_mul_f16_e32 v12, 0x3853, v8
	v_add_f16_e32 v11, v11, v13
	v_fma_f16 v13, v5, s14, v12
	v_fma_f16 v12, v5, s14, -v12
	v_mul_f16_e32 v15, 0x3abb, v6
	v_add_f16_e32 v12, v12, v17
	v_mul_f16_e32 v17, 0xba0c, v8
	v_add_f16_e32 v14, v14, v16
	v_add_f16_e32 v13, v13, v18
	v_fma_f16 v16, v7, s7, v15
	v_fma_f16 v15, v7, s15, v15
	;; [unrolled: 1-line block ×3, first 2 shown]
	v_fma_f16 v17, v5, s18, -v17
	v_add_f16_e32 v15, v15, v19
	v_mul_f16_e32 v19, 0xb93d, v6
	v_add_f16_e32 v17, v17, v24
	v_mul_f16_e32 v24, 0x3b47, v8
	v_add_f16_e32 v16, v16, v25
	v_add_f16_e32 v18, v18, v26
	v_fma_f16 v25, v7, s19, v19
	v_fma_f16 v19, v7, s17, v19
	v_fma_f16 v26, v5, s4, v24
	v_fma_f16 v24, v5, s4, -v24
	v_mul_f16_e32 v8, 0xbbeb, v8
	v_add_f16_e32 v55, v55, v57
	v_add_f16_e32 v54, v54, v58
	;; [unrolled: 1-line block ×4, first 2 shown]
	v_mul_f16_e32 v29, 0x36a6, v6
	v_add_f16_e32 v24, v24, v30
	v_fma_f16 v30, v5, s6, v8
	v_mul_f16_e32 v6, 0xb08e, v6
	v_fma_f16 v5, v5, s6, -v8
	v_add_f16_e32 v39, v39, v55
	v_add_f16_e32 v37, v37, v53
	;; [unrolled: 1-line block ×5, first 2 shown]
	v_fma_f16 v5, v7, s2, v6
	v_add_f16_e32 v35, v35, v39
	v_add_f16_e32 v33, v33, v37
	;; [unrolled: 1-line block ×6, first 2 shown]
	v_fma_f16 v31, v7, s3, v29
	v_fma_f16 v29, v7, s5, v29
	;; [unrolled: 1-line block ×3, first 2 shown]
	v_add_f16_e32 v4, v5, v4
	v_pack_b32_f16 v5, v27, v28
	v_pack_b32_f16 v6, v10, v14
	v_add_f16_e32 v31, v31, v35
	v_add_f16_e32 v29, v29, v33
	;; [unrolled: 1-line block ×4, first 2 shown]
	ds_write2_b32 v41, v5, v6 offset1:110
	v_pack_b32_f16 v5, v13, v16
	v_pack_b32_f16 v6, v18, v25
	ds_write2_b32 v3, v5, v6 offset0:92 offset1:202
	v_pack_b32_f16 v5, v26, v31
	v_pack_b32_f16 v6, v30, v32
	;; [unrolled: 1-line block ×4, first 2 shown]
	ds_write2_b32 v0, v5, v6 offset0:56 offset1:166
	ds_write2_b32 v23, v2, v4 offset0:20 offset1:130
	v_pack_b32_f16 v2, v17, v19
	v_pack_b32_f16 v4, v12, v15
	ds_write2_b32 v1, v2, v4 offset0:112 offset1:222
	v_pack_b32_f16 v1, v9, v11
	ds_write_b32 v41, v1 offset:4400
	s_waitcnt lgkmcnt(0)
	s_barrier
	ds_read2_b32 v[4:5], v41 offset1:110
	s_mov_b32 s6, 0xdfd760e6
	s_mov_b32 s7, 0x3f4b14bb
	v_mad_u64_u32 v[6:7], s[2:3], s10, v22, 0
	s_waitcnt lgkmcnt(0)
	v_lshrrev_b32_e32 v10, 16, v4
	v_mul_f16_sdwa v1, v52, v10 dst_sel:DWORD dst_unused:UNUSED_PAD src0_sel:WORD_1 src1_sel:DWORD
	v_fma_f16 v1, v52, v4, v1
	v_cvt_f32_f16_e32 v1, v1
	s_movk_i32 s14, 0x1ff
	s_movk_i32 s15, 0xffe
	v_mul_f16_sdwa v4, v52, v4 dst_sel:DWORD dst_unused:UNUSED_PAD src0_sel:WORD_1 src1_sel:DWORD
	v_cvt_f64_f32_e32 v[1:2], v1
	v_fma_f16 v4, v52, v10, -v4
	v_cvt_f32_f16_e32 v4, v4
	s_movk_i32 s16, 0x40f
	v_mul_f64 v[8:9], v[1:2], s[6:7]
	s_mov_b32 s17, 0x8000
	s_movk_i32 s18, 0x1000
	v_mad_u64_u32 v[1:2], s[2:3], s11, v22, v[7:8]
	v_lshrrev_b32_e32 v2, 8, v9
	v_mov_b32_e32 v7, v1
	v_and_or_b32 v1, v9, s14, v8
	v_cmp_ne_u32_e32 vcc, 0, v1
	v_cndmask_b32_e64 v1, 0, 1, vcc
	v_bfe_u32 v8, v9, 20, 11
	v_and_or_b32 v1, v2, s15, v1
	v_sub_u32_e32 v11, 0x3f1, v8
	v_or_b32_e32 v2, 0x1000, v1
	v_med3_i32 v11, v11, 0, 13
	v_lshrrev_b32_e32 v12, v11, v2
	v_lshlrev_b32_e32 v11, v11, v12
	v_cmp_ne_u32_e32 vcc, v11, v2
	v_cndmask_b32_e64 v2, 0, 1, vcc
	v_add_u32_e32 v8, 0xfffffc10, v8
	v_or_b32_e32 v2, v12, v2
	v_lshl_or_b32 v11, v8, 12, v1
	v_cmp_gt_i32_e32 vcc, 1, v8
	v_cndmask_b32_e32 v2, v11, v2, vcc
	v_and_b32_e32 v11, 7, v2
	v_cmp_lt_i32_e32 vcc, 5, v11
	v_cmp_eq_u32_e64 s[2:3], 3, v11
	v_cvt_f64_f32_e32 v[10:11], v4
	v_lshrrev_b32_e32 v2, 2, v2
	s_or_b64 vcc, s[2:3], vcc
	v_addc_co_u32_e32 v12, vcc, 0, v2, vcc
	v_mul_f64 v[10:11], v[10:11], s[6:7]
	v_mov_b32_e32 v2, 0x7c00
	v_cmp_gt_i32_e32 vcc, 31, v8
	v_cndmask_b32_e32 v4, v2, v12, vcc
	v_cmp_ne_u32_e32 vcc, 0, v1
	v_cndmask_b32_e64 v1, 0, 1, vcc
	v_lshl_or_b32 v1, v1, 9, v2
	v_cmp_eq_u32_e32 vcc, s16, v8
	v_cndmask_b32_e32 v1, v4, v1, vcc
	v_lshrrev_b32_e32 v4, 16, v9
	v_and_or_b32 v12, v4, s17, v1
	v_and_or_b32 v1, v11, s14, v10
	v_cmp_ne_u32_e32 vcc, 0, v1
	v_cndmask_b32_e64 v1, 0, 1, vcc
	v_lshrrev_b32_e32 v4, 8, v11
	v_bfe_u32 v8, v11, 20, 11
	v_and_or_b32 v1, v4, s15, v1
	v_sub_u32_e32 v9, 0x3f1, v8
	v_or_b32_e32 v4, 0x1000, v1
	v_med3_i32 v9, v9, 0, 13
	v_lshrrev_b32_e32 v10, v9, v4
	v_lshlrev_b32_e32 v9, v9, v10
	v_cmp_ne_u32_e32 vcc, v9, v4
	v_cndmask_b32_e64 v4, 0, 1, vcc
	v_or_b32_e32 v4, v10, v4
	v_add_u32_e32 v10, 0xfffffc10, v8
	v_lshl_or_b32 v8, v10, 12, v1
	v_cmp_gt_i32_e32 vcc, 1, v10
	v_cndmask_b32_e32 v4, v8, v4, vcc
	v_and_b32_e32 v8, 7, v4
	v_cmp_lt_i32_e32 vcc, 5, v8
	v_cmp_eq_u32_e64 s[2:3], 3, v8
	v_lshrrev_b32_e32 v4, 2, v4
	s_or_b64 vcc, s[2:3], vcc
	v_addc_co_u32_e32 v4, vcc, 0, v4, vcc
	v_cmp_gt_i32_e32 vcc, 31, v10
	v_cndmask_b32_e32 v4, v2, v4, vcc
	v_cmp_ne_u32_e32 vcc, 0, v1
	v_cndmask_b32_e64 v1, 0, 1, vcc
	v_lshl_or_b32 v1, v1, 9, v2
	v_cmp_eq_u32_e32 vcc, s16, v10
	v_mad_u64_u32 v[8:9], s[2:3], s8, v50, 0
	v_cndmask_b32_e32 v13, v4, v1, vcc
	ds_read2_b32 v[0:1], v0 offset0:56 offset1:221
	v_mov_b32_e32 v4, v9
	v_mad_u64_u32 v[9:10], s[2:3], s9, v50, v[4:5]
	v_lshrrev_b32_e32 v11, 16, v11
	s_waitcnt lgkmcnt(0)
	v_lshrrev_b32_e32 v4, 16, v1
	v_mul_f16_sdwa v10, v51, v4 dst_sel:DWORD dst_unused:UNUSED_PAD src0_sel:WORD_1 src1_sel:DWORD
	v_fma_f16 v10, v51, v1, v10
	v_cvt_f32_f16_e32 v10, v10
	v_and_or_b32 v13, v11, s17, v13
	v_lshlrev_b64 v[6:7], 2, v[6:7]
	v_and_b32_e32 v12, 0xffff, v12
	v_cvt_f64_f32_e32 v[10:11], v10
	v_lshl_or_b32 v12, v13, 16, v12
	v_mov_b32_e32 v13, s13
	v_add_co_u32_e32 v14, vcc, s12, v6
	v_mul_f64 v[10:11], v[10:11], s[6:7]
	v_addc_co_u32_e32 v13, vcc, v13, v7, vcc
	v_lshlrev_b64 v[6:7], 2, v[8:9]
	v_mul_f16_sdwa v1, v51, v1 dst_sel:DWORD dst_unused:UNUSED_PAD src0_sel:WORD_1 src1_sel:DWORD
	v_add_co_u32_e32 v6, vcc, v14, v6
	v_addc_co_u32_e32 v7, vcc, v13, v7, vcc
	v_and_or_b32 v8, v11, s14, v10
	v_cmp_ne_u32_e32 vcc, 0, v8
	v_cndmask_b32_e64 v8, 0, 1, vcc
	v_lshrrev_b32_e32 v9, 8, v11
	v_and_or_b32 v10, v9, s15, v8
	v_bfe_u32 v9, v11, 20, 11
	global_store_dword v[6:7], v12, off
	v_sub_u32_e32 v12, 0x3f1, v9
	v_or_b32_e32 v8, 0x1000, v10
	v_med3_i32 v12, v12, 0, 13
	v_lshrrev_b32_e32 v13, v12, v8
	v_lshlrev_b32_e32 v12, v12, v13
	v_cmp_ne_u32_e32 vcc, v12, v8
	v_fma_f16 v1, v51, v4, -v1
	v_cndmask_b32_e64 v8, 0, 1, vcc
	v_add_u32_e32 v12, 0xfffffc10, v9
	v_cvt_f32_f16_e32 v1, v1
	v_or_b32_e32 v8, v13, v8
	v_lshl_or_b32 v9, v12, 12, v10
	v_cmp_gt_i32_e32 vcc, 1, v12
	v_cndmask_b32_e32 v8, v9, v8, vcc
	v_and_b32_e32 v9, 7, v8
	v_cmp_lt_i32_e32 vcc, 5, v9
	v_cmp_eq_u32_e64 s[2:3], 3, v9
	v_lshrrev_b32_e32 v4, 2, v8
	v_cvt_f64_f32_e32 v[8:9], v1
	s_or_b64 vcc, s[2:3], vcc
	v_addc_co_u32_e32 v1, vcc, 0, v4, vcc
	v_mul_f64 v[8:9], v[8:9], s[6:7]
	v_cmp_gt_i32_e32 vcc, 31, v12
	v_cndmask_b32_e32 v1, v2, v1, vcc
	v_cmp_ne_u32_e32 vcc, 0, v10
	v_cndmask_b32_e64 v4, 0, 1, vcc
	v_lshl_or_b32 v4, v4, 9, v2
	v_cmp_eq_u32_e32 vcc, s16, v12
	v_cndmask_b32_e32 v1, v1, v4, vcc
	v_lshrrev_b32_e32 v4, 16, v11
	v_and_or_b32 v1, v4, s17, v1
	v_and_or_b32 v4, v9, s14, v8
	v_cmp_ne_u32_e32 vcc, 0, v4
	v_cndmask_b32_e64 v4, 0, 1, vcc
	v_lshrrev_b32_e32 v8, 8, v9
	v_bfe_u32 v10, v9, 20, 11
	v_and_or_b32 v4, v8, s15, v4
	v_sub_u32_e32 v11, 0x3f1, v10
	v_or_b32_e32 v8, 0x1000, v4
	v_med3_i32 v11, v11, 0, 13
	v_lshrrev_b32_e32 v12, v11, v8
	v_lshlrev_b32_e32 v11, v11, v12
	v_cmp_ne_u32_e32 vcc, v11, v8
	v_cndmask_b32_e64 v8, 0, 1, vcc
	v_add_u32_e32 v10, 0xfffffc10, v10
	v_or_b32_e32 v8, v12, v8
	v_lshl_or_b32 v11, v10, 12, v4
	v_cmp_gt_i32_e32 vcc, 1, v10
	v_cndmask_b32_e32 v8, v11, v8, vcc
	v_and_b32_e32 v11, 7, v8
	v_cmp_lt_i32_e32 vcc, 5, v11
	v_cmp_eq_u32_e64 s[2:3], 3, v11
	v_lshrrev_b32_e32 v8, 2, v8
	s_or_b64 vcc, s[2:3], vcc
	v_addc_co_u32_e32 v8, vcc, 0, v8, vcc
	v_cmp_gt_i32_e32 vcc, 31, v10
	v_cndmask_b32_e32 v8, v2, v8, vcc
	v_cmp_ne_u32_e32 vcc, 0, v4
	v_cndmask_b32_e64 v4, 0, 1, vcc
	v_lshl_or_b32 v4, v4, 9, v2
	v_cmp_eq_u32_e32 vcc, s16, v10
	v_cndmask_b32_e32 v4, v8, v4, vcc
	v_lshrrev_b32_e32 v8, 16, v9
	v_lshrrev_b32_e32 v10, 16, v5
	v_and_or_b32 v4, v8, s17, v4
	v_mul_f16_sdwa v8, v49, v10 dst_sel:DWORD dst_unused:UNUSED_PAD src0_sel:WORD_1 src1_sel:DWORD
	v_fma_f16 v8, v49, v5, v8
	v_cvt_f32_f16_e32 v8, v8
	s_mul_i32 s2, s9, 0x25d
	s_mul_hi_u32 s3, s8, 0x25d
	s_add_i32 s3, s3, s2
	v_cvt_f64_f32_e32 v[8:9], v8
	s_mul_i32 s2, s8, 0x25d
	v_and_b32_e32 v1, 0xffff, v1
	s_lshl_b64 s[10:11], s[2:3], 2
	v_mul_f64 v[8:9], v[8:9], s[6:7]
	v_lshl_or_b32 v4, v4, 16, v1
	v_mov_b32_e32 v1, s11
	v_add_co_u32_e32 v6, vcc, s10, v6
	v_addc_co_u32_e32 v7, vcc, v7, v1, vcc
	global_store_dword v[6:7], v4, off
	v_and_or_b32 v4, v9, s14, v8
	v_cmp_ne_u32_e32 vcc, 0, v4
	v_cndmask_b32_e64 v4, 0, 1, vcc
	v_lshrrev_b32_e32 v8, 8, v9
	v_bfe_u32 v11, v9, 20, 11
	v_and_or_b32 v8, v8, s15, v4
	v_sub_u32_e32 v12, 0x3f1, v11
	v_or_b32_e32 v4, 0x1000, v8
	v_med3_i32 v12, v12, 0, 13
	v_lshrrev_b32_e32 v13, v12, v4
	v_mul_f16_sdwa v5, v49, v5 dst_sel:DWORD dst_unused:UNUSED_PAD src0_sel:WORD_1 src1_sel:DWORD
	v_lshlrev_b32_e32 v12, v12, v13
	v_fma_f16 v5, v49, v10, -v5
	v_cmp_ne_u32_e32 vcc, v12, v4
	v_cvt_f32_f16_e32 v5, v5
	v_cndmask_b32_e64 v4, 0, 1, vcc
	v_add_u32_e32 v11, 0xfffffc10, v11
	v_or_b32_e32 v4, v13, v4
	v_lshl_or_b32 v12, v11, 12, v8
	v_cmp_gt_i32_e32 vcc, 1, v11
	v_cndmask_b32_e32 v4, v12, v4, vcc
	v_and_b32_e32 v12, 7, v4
	v_lshrrev_b32_e32 v10, 2, v4
	v_cvt_f64_f32_e32 v[4:5], v5
	v_cmp_lt_i32_e32 vcc, 5, v12
	v_cmp_eq_u32_e64 s[2:3], 3, v12
	s_or_b64 vcc, s[2:3], vcc
	v_mul_f64 v[4:5], v[4:5], s[6:7]
	v_addc_co_u32_e32 v10, vcc, 0, v10, vcc
	v_cmp_gt_i32_e32 vcc, 31, v11
	v_cndmask_b32_e32 v10, v2, v10, vcc
	v_cmp_ne_u32_e32 vcc, 0, v8
	v_cndmask_b32_e64 v8, 0, 1, vcc
	v_lshl_or_b32 v8, v8, 9, v2
	v_cmp_eq_u32_e32 vcc, s16, v11
	v_and_or_b32 v4, v5, s14, v4
	v_cndmask_b32_e32 v8, v10, v8, vcc
	v_lshrrev_b32_e32 v9, 16, v9
	v_cmp_ne_u32_e32 vcc, 0, v4
	v_and_or_b32 v10, v9, s17, v8
	v_cndmask_b32_e64 v4, 0, 1, vcc
	v_lshrrev_b32_e32 v8, 8, v5
	v_bfe_u32 v9, v5, 20, 11
	v_and_or_b32 v4, v8, s15, v4
	v_sub_u32_e32 v11, 0x3f1, v9
	v_or_b32_e32 v8, 0x1000, v4
	v_med3_i32 v11, v11, 0, 13
	v_lshrrev_b32_e32 v12, v11, v8
	v_lshlrev_b32_e32 v11, v11, v12
	v_cmp_ne_u32_e32 vcc, v11, v8
	v_cndmask_b32_e64 v8, 0, 1, vcc
	v_add_u32_e32 v11, 0xfffffc10, v9
	v_or_b32_e32 v8, v12, v8
	v_lshl_or_b32 v9, v11, 12, v4
	v_cmp_gt_i32_e32 vcc, 1, v11
	v_cndmask_b32_e32 v8, v9, v8, vcc
	v_and_b32_e32 v9, 7, v8
	v_cmp_lt_i32_e32 vcc, 5, v9
	v_cmp_eq_u32_e64 s[2:3], 3, v9
	v_lshrrev_b32_e32 v8, 2, v8
	s_or_b64 vcc, s[2:3], vcc
	v_addc_co_u32_e32 v8, vcc, 0, v8, vcc
	v_cmp_gt_i32_e32 vcc, 31, v11
	v_cndmask_b32_e32 v12, v2, v8, vcc
	ds_read2_b32 v[8:9], v23 offset0:75 offset1:185
	v_cmp_ne_u32_e32 vcc, 0, v4
	v_cndmask_b32_e64 v4, 0, 1, vcc
	v_lshl_or_b32 v4, v4, 9, v2
	v_cmp_eq_u32_e32 vcc, s16, v11
	v_cndmask_b32_e32 v4, v12, v4, vcc
	v_lshrrev_b32_e32 v5, 16, v5
	s_waitcnt lgkmcnt(0)
	v_lshrrev_b32_e32 v12, 16, v8
	v_and_or_b32 v11, v5, s17, v4
	v_mul_f16_sdwa v4, v48, v12 dst_sel:DWORD dst_unused:UNUSED_PAD src0_sel:WORD_1 src1_sel:DWORD
	v_fma_f16 v4, v48, v8, v4
	v_cvt_f32_f16_e32 v4, v4
	v_and_b32_e32 v10, 0xffff, v10
	v_lshl_or_b32 v13, v11, 16, v10
	s_mul_hi_u32 s3, s8, 0xfffffe11
	v_cvt_f64_f32_e32 v[4:5], v4
	s_mul_i32 s2, s9, 0xfffffe11
	s_sub_i32 s3, s3, s8
	s_add_i32 s3, s3, s2
	v_mul_f64 v[10:11], v[4:5], s[6:7]
	s_mul_i32 s2, s8, 0xfffffe11
	s_lshl_b64 s[4:5], s[2:3], 2
	v_mov_b32_e32 v4, s5
	v_add_co_u32_e32 v5, vcc, s4, v6
	v_addc_co_u32_e32 v6, vcc, v7, v4, vcc
	v_and_or_b32 v7, v11, s14, v10
	v_cmp_ne_u32_e32 vcc, 0, v7
	global_store_dword v[5:6], v13, off
	v_cndmask_b32_e64 v7, 0, 1, vcc
	v_lshrrev_b32_e32 v10, 8, v11
	v_bfe_u32 v13, v11, 20, 11
	v_and_or_b32 v10, v10, s15, v7
	v_sub_u32_e32 v14, 0x3f1, v13
	v_or_b32_e32 v7, 0x1000, v10
	v_med3_i32 v14, v14, 0, 13
	v_lshrrev_b32_e32 v15, v14, v7
	v_mul_f16_sdwa v8, v48, v8 dst_sel:DWORD dst_unused:UNUSED_PAD src0_sel:WORD_1 src1_sel:DWORD
	v_lshlrev_b32_e32 v14, v14, v15
	v_fma_f16 v8, v48, v12, -v8
	v_cmp_ne_u32_e32 vcc, v14, v7
	v_cvt_f32_f16_e32 v8, v8
	v_cndmask_b32_e64 v7, 0, 1, vcc
	v_add_u32_e32 v13, 0xfffffc10, v13
	v_or_b32_e32 v7, v15, v7
	v_lshl_or_b32 v14, v13, 12, v10
	v_cmp_gt_i32_e32 vcc, 1, v13
	v_cndmask_b32_e32 v7, v14, v7, vcc
	v_and_b32_e32 v14, 7, v7
	v_lshrrev_b32_e32 v12, 2, v7
	v_cvt_f64_f32_e32 v[7:8], v8
	v_cmp_lt_i32_e32 vcc, 5, v14
	v_cmp_eq_u32_e64 s[2:3], 3, v14
	s_or_b64 vcc, s[2:3], vcc
	v_mul_f64 v[7:8], v[7:8], s[6:7]
	v_addc_co_u32_e32 v12, vcc, 0, v12, vcc
	v_cmp_gt_i32_e32 vcc, 31, v13
	v_cndmask_b32_e32 v12, v2, v12, vcc
	v_cmp_ne_u32_e32 vcc, 0, v10
	v_cndmask_b32_e64 v10, 0, 1, vcc
	v_lshl_or_b32 v10, v10, 9, v2
	v_cmp_eq_u32_e32 vcc, s16, v13
	v_and_or_b32 v7, v8, s14, v7
	v_cndmask_b32_e32 v10, v12, v10, vcc
	v_lshrrev_b32_e32 v11, 16, v11
	v_cmp_ne_u32_e32 vcc, 0, v7
	v_and_or_b32 v14, v11, s17, v10
	v_cndmask_b32_e64 v7, 0, 1, vcc
	v_lshrrev_b32_e32 v10, 8, v8
	v_bfe_u32 v11, v8, 20, 11
	v_and_or_b32 v7, v10, s15, v7
	v_sub_u32_e32 v12, 0x3f1, v11
	v_or_b32_e32 v10, 0x1000, v7
	v_med3_i32 v12, v12, 0, 13
	v_lshrrev_b32_e32 v13, v12, v10
	v_lshlrev_b32_e32 v12, v12, v13
	v_cmp_ne_u32_e32 vcc, v12, v10
	v_cndmask_b32_e64 v10, 0, 1, vcc
	v_add_u32_e32 v15, 0xfffffc10, v11
	v_or_b32_e32 v10, v13, v10
	v_lshl_or_b32 v11, v15, 12, v7
	v_cmp_gt_i32_e32 vcc, 1, v15
	v_cndmask_b32_e32 v10, v11, v10, vcc
	v_and_b32_e32 v11, 7, v10
	v_cmp_lt_i32_e32 vcc, 5, v11
	v_cmp_eq_u32_e64 s[2:3], 3, v11
	v_lshrrev_b32_e32 v12, 2, v10
	ds_read2_b32 v[10:11], v3 offset0:92 offset1:202
	s_or_b64 vcc, s[2:3], vcc
	v_addc_co_u32_e32 v3, vcc, 0, v12, vcc
	v_cmp_gt_i32_e32 vcc, 31, v15
	s_waitcnt lgkmcnt(0)
	v_lshrrev_b32_e32 v16, 16, v10
	v_mul_f16_sdwa v12, v47, v16 dst_sel:DWORD dst_unused:UNUSED_PAD src0_sel:WORD_1 src1_sel:DWORD
	v_fma_f16 v12, v47, v10, v12
	v_cvt_f32_f16_e32 v12, v12
	v_cndmask_b32_e32 v3, v2, v3, vcc
	v_cmp_ne_u32_e32 vcc, 0, v7
	v_cndmask_b32_e64 v7, 0, 1, vcc
	v_cvt_f64_f32_e32 v[12:13], v12
	v_lshl_or_b32 v7, v7, 9, v2
	v_cmp_eq_u32_e32 vcc, s16, v15
	v_cndmask_b32_e32 v3, v3, v7, vcc
	v_lshrrev_b32_e32 v7, 16, v8
	v_and_or_b32 v3, v7, s17, v3
	v_mul_f64 v[7:8], v[12:13], s[6:7]
	v_and_b32_e32 v12, 0xffff, v14
	v_add_co_u32_e32 v5, vcc, s10, v5
	v_lshl_or_b32 v3, v3, 16, v12
	v_addc_co_u32_e32 v6, vcc, v6, v1, vcc
	global_store_dword v[5:6], v3, off
	v_and_or_b32 v3, v8, s14, v7
	v_cmp_ne_u32_e32 vcc, 0, v3
	v_cndmask_b32_e64 v3, 0, 1, vcc
	v_lshrrev_b32_e32 v7, 8, v8
	v_bfe_u32 v12, v8, 20, 11
	v_and_or_b32 v3, v7, s15, v3
	v_sub_u32_e32 v13, 0x3f1, v12
	v_or_b32_e32 v7, 0x1000, v3
	v_med3_i32 v13, v13, 0, 13
	v_lshrrev_b32_e32 v14, v13, v7
	v_lshlrev_b32_e32 v13, v13, v14
	v_cmp_ne_u32_e32 vcc, v13, v7
	v_mul_f16_sdwa v10, v47, v10 dst_sel:DWORD dst_unused:UNUSED_PAD src0_sel:WORD_1 src1_sel:DWORD
	v_cndmask_b32_e64 v7, 0, 1, vcc
	v_fma_f16 v10, v47, v16, -v10
	v_or_b32_e32 v7, v14, v7
	v_add_u32_e32 v14, 0xfffffc10, v12
	v_cvt_f32_f16_e32 v10, v10
	v_lshl_or_b32 v12, v14, 12, v3
	v_cmp_gt_i32_e32 vcc, 1, v14
	v_cndmask_b32_e32 v7, v12, v7, vcc
	v_and_b32_e32 v12, 7, v7
	v_cmp_lt_i32_e32 vcc, 5, v12
	v_cmp_eq_u32_e64 s[2:3], 3, v12
	v_cvt_f64_f32_e32 v[12:13], v10
	v_lshrrev_b32_e32 v7, 2, v7
	s_or_b64 vcc, s[2:3], vcc
	v_addc_co_u32_e32 v7, vcc, 0, v7, vcc
	v_mul_f64 v[12:13], v[12:13], s[6:7]
	v_cmp_gt_i32_e32 vcc, 31, v14
	v_cndmask_b32_e32 v7, v2, v7, vcc
	v_cmp_ne_u32_e32 vcc, 0, v3
	v_cndmask_b32_e64 v3, 0, 1, vcc
	v_lshl_or_b32 v3, v3, 9, v2
	v_cmp_eq_u32_e32 vcc, s16, v14
	v_cndmask_b32_e32 v3, v7, v3, vcc
	v_lshrrev_b32_e32 v7, 16, v8
	v_and_or_b32 v3, v7, s17, v3
	v_and_or_b32 v7, v13, s14, v12
	v_cmp_ne_u32_e32 vcc, 0, v7
	v_cndmask_b32_e64 v7, 0, 1, vcc
	v_lshrrev_b32_e32 v8, 8, v13
	v_bfe_u32 v10, v13, 20, 11
	v_and_or_b32 v7, v8, s15, v7
	v_sub_u32_e32 v12, 0x3f1, v10
	v_or_b32_e32 v8, 0x1000, v7
	v_med3_i32 v12, v12, 0, 13
	v_lshrrev_b32_e32 v14, v12, v8
	v_lshlrev_b32_e32 v12, v12, v14
	v_cmp_ne_u32_e32 vcc, v12, v8
	v_cndmask_b32_e64 v8, 0, 1, vcc
	v_add_u32_e32 v10, 0xfffffc10, v10
	v_or_b32_e32 v8, v14, v8
	v_lshl_or_b32 v12, v10, 12, v7
	v_cmp_gt_i32_e32 vcc, 1, v10
	v_cndmask_b32_e32 v8, v12, v8, vcc
	v_and_b32_e32 v12, 7, v8
	v_cmp_lt_i32_e32 vcc, 5, v12
	v_cmp_eq_u32_e64 s[2:3], 3, v12
	v_lshrrev_b32_e32 v8, 2, v8
	s_or_b64 vcc, s[2:3], vcc
	v_addc_co_u32_e32 v8, vcc, 0, v8, vcc
	v_cmp_gt_i32_e32 vcc, 31, v10
	v_lshrrev_b32_e32 v14, 16, v9
	v_cndmask_b32_e32 v12, v2, v8, vcc
	v_mul_f16_sdwa v8, v46, v14 dst_sel:DWORD dst_unused:UNUSED_PAD src0_sel:WORD_1 src1_sel:DWORD
	v_fma_f16 v8, v46, v9, v8
	v_cvt_f32_f16_e32 v8, v8
	v_cmp_ne_u32_e32 vcc, 0, v7
	v_cndmask_b32_e64 v7, 0, 1, vcc
	v_lshl_or_b32 v15, v7, 9, v2
	v_cvt_f64_f32_e32 v[7:8], v8
	v_cmp_eq_u32_e32 vcc, s16, v10
	v_cndmask_b32_e32 v10, v12, v15, vcc
	v_lshrrev_b32_e32 v12, 16, v13
	v_mul_f64 v[7:8], v[7:8], s[6:7]
	v_and_or_b32 v10, v12, s17, v10
	v_and_b32_e32 v3, 0xffff, v3
	v_add_co_u32_e32 v5, vcc, s4, v5
	v_lshl_or_b32 v3, v10, 16, v3
	v_addc_co_u32_e32 v6, vcc, v6, v4, vcc
	global_store_dword v[5:6], v3, off
	v_and_or_b32 v3, v8, s14, v7
	v_cmp_ne_u32_e32 vcc, 0, v3
	v_cndmask_b32_e64 v3, 0, 1, vcc
	v_lshrrev_b32_e32 v7, 8, v8
	v_bfe_u32 v10, v8, 20, 11
	v_and_or_b32 v3, v7, s15, v3
	v_sub_u32_e32 v12, 0x3f1, v10
	v_or_b32_e32 v7, 0x1000, v3
	v_med3_i32 v12, v12, 0, 13
	v_lshrrev_b32_e32 v13, v12, v7
	v_lshlrev_b32_e32 v12, v12, v13
	v_mul_f16_sdwa v9, v46, v9 dst_sel:DWORD dst_unused:UNUSED_PAD src0_sel:WORD_1 src1_sel:DWORD
	v_cmp_ne_u32_e32 vcc, v12, v7
	v_fma_f16 v9, v46, v14, -v9
	v_cndmask_b32_e64 v7, 0, 1, vcc
	v_add_u32_e32 v12, 0xfffffc10, v10
	v_cvt_f32_f16_e32 v9, v9
	v_or_b32_e32 v7, v13, v7
	v_lshl_or_b32 v10, v12, 12, v3
	v_cmp_gt_i32_e32 vcc, 1, v12
	v_cndmask_b32_e32 v7, v10, v7, vcc
	v_and_b32_e32 v10, 7, v7
	v_cmp_lt_i32_e32 vcc, 5, v10
	v_cmp_eq_u32_e64 s[2:3], 3, v10
	v_cvt_f64_f32_e32 v[9:10], v9
	v_lshrrev_b32_e32 v7, 2, v7
	s_or_b64 vcc, s[2:3], vcc
	v_addc_co_u32_e32 v7, vcc, 0, v7, vcc
	v_mul_f64 v[9:10], v[9:10], s[6:7]
	v_cmp_gt_i32_e32 vcc, 31, v12
	v_cndmask_b32_e32 v7, v2, v7, vcc
	v_cmp_ne_u32_e32 vcc, 0, v3
	v_cndmask_b32_e64 v3, 0, 1, vcc
	v_lshl_or_b32 v3, v3, 9, v2
	v_cmp_eq_u32_e32 vcc, s16, v12
	v_cndmask_b32_e32 v3, v7, v3, vcc
	v_lshrrev_b32_e32 v7, 16, v8
	v_and_or_b32 v3, v7, s17, v3
	v_and_or_b32 v7, v10, s14, v9
	v_cmp_ne_u32_e32 vcc, 0, v7
	v_cndmask_b32_e64 v7, 0, 1, vcc
	v_lshrrev_b32_e32 v8, 8, v10
	v_bfe_u32 v9, v10, 20, 11
	v_and_or_b32 v7, v8, s15, v7
	v_sub_u32_e32 v12, 0x3f1, v9
	v_or_b32_e32 v8, 0x1000, v7
	v_med3_i32 v12, v12, 0, 13
	v_lshrrev_b32_e32 v13, v12, v8
	v_lshlrev_b32_e32 v12, v12, v13
	v_cmp_ne_u32_e32 vcc, v12, v8
	v_cndmask_b32_e64 v8, 0, 1, vcc
	v_add_u32_e32 v9, 0xfffffc10, v9
	v_or_b32_e32 v8, v13, v8
	v_lshl_or_b32 v12, v9, 12, v7
	v_cmp_gt_i32_e32 vcc, 1, v9
	v_cndmask_b32_e32 v8, v12, v8, vcc
	v_and_b32_e32 v12, 7, v8
	v_cmp_lt_i32_e32 vcc, 5, v12
	v_cmp_eq_u32_e64 s[2:3], 3, v12
	v_lshrrev_b32_e32 v8, 2, v8
	s_or_b64 vcc, s[2:3], vcc
	v_addc_co_u32_e32 v8, vcc, 0, v8, vcc
	v_cmp_gt_i32_e32 vcc, 31, v9
	v_lshrrev_b32_e32 v13, 16, v11
	v_cndmask_b32_e32 v12, v2, v8, vcc
	v_mul_f16_sdwa v8, v45, v13 dst_sel:DWORD dst_unused:UNUSED_PAD src0_sel:WORD_1 src1_sel:DWORD
	v_fma_f16 v8, v45, v11, v8
	v_cvt_f32_f16_e32 v8, v8
	v_cmp_ne_u32_e32 vcc, 0, v7
	v_cndmask_b32_e64 v7, 0, 1, vcc
	v_lshl_or_b32 v14, v7, 9, v2
	v_cvt_f64_f32_e32 v[7:8], v8
	v_cmp_eq_u32_e32 vcc, s16, v9
	v_cndmask_b32_e32 v9, v12, v14, vcc
	v_lshrrev_b32_e32 v10, 16, v10
	v_mul_f64 v[7:8], v[7:8], s[6:7]
	v_and_or_b32 v9, v10, s17, v9
	v_and_b32_e32 v3, 0xffff, v3
	v_add_co_u32_e32 v5, vcc, s10, v5
	v_lshl_or_b32 v3, v9, 16, v3
	v_addc_co_u32_e32 v6, vcc, v6, v1, vcc
	global_store_dword v[5:6], v3, off
	v_and_or_b32 v3, v8, s14, v7
	v_cmp_ne_u32_e32 vcc, 0, v3
	v_cndmask_b32_e64 v3, 0, 1, vcc
	v_lshrrev_b32_e32 v7, 8, v8
	v_bfe_u32 v9, v8, 20, 11
	v_and_or_b32 v3, v7, s15, v3
	v_sub_u32_e32 v10, 0x3f1, v9
	v_or_b32_e32 v7, 0x1000, v3
	v_med3_i32 v10, v10, 0, 13
	v_lshrrev_b32_e32 v12, v10, v7
	v_lshlrev_b32_e32 v10, v10, v12
	v_cmp_ne_u32_e32 vcc, v10, v7
	v_mul_f16_sdwa v10, v45, v11 dst_sel:DWORD dst_unused:UNUSED_PAD src0_sel:WORD_1 src1_sel:DWORD
	v_cndmask_b32_e64 v7, 0, 1, vcc
	v_fma_f16 v10, v45, v13, -v10
	v_or_b32_e32 v7, v12, v7
	v_add_u32_e32 v12, 0xfffffc10, v9
	v_cvt_f32_f16_e32 v10, v10
	v_lshl_or_b32 v9, v12, 12, v3
	v_cmp_gt_i32_e32 vcc, 1, v12
	v_cndmask_b32_e32 v7, v9, v7, vcc
	v_and_b32_e32 v9, 7, v7
	v_cmp_lt_i32_e32 vcc, 5, v9
	v_cmp_eq_u32_e64 s[2:3], 3, v9
	v_cvt_f64_f32_e32 v[9:10], v10
	v_lshrrev_b32_e32 v7, 2, v7
	s_or_b64 vcc, s[2:3], vcc
	v_addc_co_u32_e32 v7, vcc, 0, v7, vcc
	v_mul_f64 v[9:10], v[9:10], s[6:7]
	v_cmp_gt_i32_e32 vcc, 31, v12
	v_cndmask_b32_e32 v7, v2, v7, vcc
	v_cmp_ne_u32_e32 vcc, 0, v3
	v_cndmask_b32_e64 v3, 0, 1, vcc
	v_lshl_or_b32 v3, v3, 9, v2
	v_cmp_eq_u32_e32 vcc, s16, v12
	v_cndmask_b32_e32 v3, v7, v3, vcc
	v_lshrrev_b32_e32 v7, 16, v8
	v_and_or_b32 v3, v7, s17, v3
	v_and_or_b32 v7, v10, s14, v9
	v_cmp_ne_u32_e32 vcc, 0, v7
	v_cndmask_b32_e64 v7, 0, 1, vcc
	v_lshrrev_b32_e32 v8, 8, v10
	v_and_or_b32 v9, v8, s15, v7
	v_bfe_u32 v8, v10, 20, 11
	v_sub_u32_e32 v11, 0x3f1, v8
	v_or_b32_e32 v7, 0x1000, v9
	v_med3_i32 v11, v11, 0, 13
	v_lshrrev_b32_e32 v12, v11, v7
	v_lshlrev_b32_e32 v11, v11, v12
	v_cmp_ne_u32_e32 vcc, v11, v7
	v_cndmask_b32_e64 v7, 0, 1, vcc
	v_add_u32_e32 v13, 0xfffffc10, v8
	v_or_b32_e32 v7, v12, v7
	v_lshl_or_b32 v8, v13, 12, v9
	v_cmp_gt_i32_e32 vcc, 1, v13
	v_cndmask_b32_e32 v7, v8, v7, vcc
	v_and_b32_e32 v8, 7, v7
	v_lshrrev_b32_e32 v11, 2, v7
	v_add_u32_e32 v7, 0xe00, v41
	v_cmp_lt_i32_e32 vcc, 5, v8
	v_cmp_eq_u32_e64 s[2:3], 3, v8
	ds_read2_b32 v[7:8], v7 offset0:39 offset1:149
	s_or_b64 vcc, s[2:3], vcc
	v_addc_co_u32_e32 v11, vcc, 0, v11, vcc
	v_cmp_gt_i32_e32 vcc, 31, v13
	s_waitcnt lgkmcnt(0)
	v_lshrrev_b32_e32 v15, 16, v7
	v_cndmask_b32_e32 v14, v2, v11, vcc
	v_mul_f16_sdwa v11, v44, v15 dst_sel:DWORD dst_unused:UNUSED_PAD src0_sel:WORD_1 src1_sel:DWORD
	v_fma_f16 v11, v44, v7, v11
	v_cvt_f32_f16_e32 v11, v11
	v_cmp_ne_u32_e32 vcc, 0, v9
	v_cndmask_b32_e64 v9, 0, 1, vcc
	v_lshl_or_b32 v9, v9, 9, v2
	v_cvt_f64_f32_e32 v[11:12], v11
	v_cmp_eq_u32_e32 vcc, s16, v13
	v_cndmask_b32_e32 v9, v14, v9, vcc
	v_lshrrev_b32_e32 v10, 16, v10
	v_and_or_b32 v13, v10, s17, v9
	v_mul_f64 v[9:10], v[11:12], s[6:7]
	v_and_b32_e32 v3, 0xffff, v3
	v_add_co_u32_e32 v5, vcc, s4, v5
	v_lshl_or_b32 v3, v13, 16, v3
	v_addc_co_u32_e32 v6, vcc, v6, v4, vcc
	global_store_dword v[5:6], v3, off
	v_and_or_b32 v3, v10, s14, v9
	v_cmp_ne_u32_e32 vcc, 0, v3
	v_cndmask_b32_e64 v3, 0, 1, vcc
	v_lshrrev_b32_e32 v9, 8, v10
	v_bfe_u32 v11, v10, 20, 11
	v_and_or_b32 v3, v9, s15, v3
	v_sub_u32_e32 v12, 0x3f1, v11
	v_or_b32_e32 v9, 0x1000, v3
	v_med3_i32 v12, v12, 0, 13
	v_lshrrev_b32_e32 v13, v12, v9
	v_lshlrev_b32_e32 v12, v12, v13
	v_cmp_ne_u32_e32 vcc, v12, v9
	v_mul_f16_sdwa v7, v44, v7 dst_sel:DWORD dst_unused:UNUSED_PAD src0_sel:WORD_1 src1_sel:DWORD
	v_cndmask_b32_e64 v9, 0, 1, vcc
	v_fma_f16 v7, v44, v15, -v7
	v_or_b32_e32 v9, v13, v9
	v_add_u32_e32 v13, 0xfffffc10, v11
	v_cvt_f32_f16_e32 v7, v7
	v_lshl_or_b32 v11, v13, 12, v3
	v_cmp_gt_i32_e32 vcc, 1, v13
	v_cndmask_b32_e32 v9, v11, v9, vcc
	v_and_b32_e32 v11, 7, v9
	v_cmp_lt_i32_e32 vcc, 5, v11
	v_cmp_eq_u32_e64 s[2:3], 3, v11
	v_cvt_f64_f32_e32 v[11:12], v7
	v_lshrrev_b32_e32 v9, 2, v9
	s_or_b64 vcc, s[2:3], vcc
	v_addc_co_u32_e32 v7, vcc, 0, v9, vcc
	v_mul_f64 v[11:12], v[11:12], s[6:7]
	v_cmp_gt_i32_e32 vcc, 31, v13
	v_cndmask_b32_e32 v7, v2, v7, vcc
	v_cmp_ne_u32_e32 vcc, 0, v3
	v_cndmask_b32_e64 v3, 0, 1, vcc
	v_lshl_or_b32 v3, v3, 9, v2
	v_cmp_eq_u32_e32 vcc, s16, v13
	v_cndmask_b32_e32 v3, v7, v3, vcc
	v_lshrrev_b32_e32 v7, 16, v10
	v_and_or_b32 v3, v7, s17, v3
	v_and_or_b32 v7, v12, s14, v11
	v_cmp_ne_u32_e32 vcc, 0, v7
	v_cndmask_b32_e64 v7, 0, 1, vcc
	v_lshrrev_b32_e32 v9, 8, v12
	v_bfe_u32 v10, v12, 20, 11
	v_and_or_b32 v7, v9, s15, v7
	v_sub_u32_e32 v11, 0x3f1, v10
	v_or_b32_e32 v9, 0x1000, v7
	v_med3_i32 v11, v11, 0, 13
	v_lshrrev_b32_e32 v13, v11, v9
	v_lshlrev_b32_e32 v11, v11, v13
	v_cmp_ne_u32_e32 vcc, v11, v9
	v_cndmask_b32_e64 v9, 0, 1, vcc
	v_add_u32_e32 v11, 0xfffffc10, v10
	v_or_b32_e32 v9, v13, v9
	v_lshl_or_b32 v10, v11, 12, v7
	v_cmp_gt_i32_e32 vcc, 1, v11
	v_cndmask_b32_e32 v9, v10, v9, vcc
	v_and_b32_e32 v10, 7, v9
	v_cmp_lt_i32_e32 vcc, 5, v10
	v_cmp_eq_u32_e64 s[2:3], 3, v10
	v_lshrrev_b32_e32 v9, 2, v9
	s_or_b64 vcc, s[2:3], vcc
	v_addc_co_u32_e32 v9, vcc, 0, v9, vcc
	v_cmp_gt_i32_e32 vcc, 31, v11
	v_lshrrev_b32_e32 v14, 16, v0
	v_cndmask_b32_e32 v13, v2, v9, vcc
	v_mul_f16_sdwa v9, v43, v14 dst_sel:DWORD dst_unused:UNUSED_PAD src0_sel:WORD_1 src1_sel:DWORD
	v_fma_f16 v9, v43, v0, v9
	v_cvt_f32_f16_e32 v9, v9
	v_cmp_ne_u32_e32 vcc, 0, v7
	v_cndmask_b32_e64 v7, 0, 1, vcc
	v_lshl_or_b32 v7, v7, 9, v2
	v_cvt_f64_f32_e32 v[9:10], v9
	v_cmp_eq_u32_e32 vcc, s16, v11
	v_cndmask_b32_e32 v7, v13, v7, vcc
	v_lshrrev_b32_e32 v11, 16, v12
	v_mul_f64 v[9:10], v[9:10], s[6:7]
	v_and_or_b32 v7, v11, s17, v7
	v_and_b32_e32 v3, 0xffff, v3
	v_add_co_u32_e32 v5, vcc, s10, v5
	v_lshl_or_b32 v3, v7, 16, v3
	v_addc_co_u32_e32 v6, vcc, v6, v1, vcc
	global_store_dword v[5:6], v3, off
	v_and_or_b32 v3, v10, s14, v9
	v_cmp_ne_u32_e32 vcc, 0, v3
	v_cndmask_b32_e64 v3, 0, 1, vcc
	v_lshrrev_b32_e32 v7, 8, v10
	v_bfe_u32 v9, v10, 20, 11
	v_and_or_b32 v3, v7, s15, v3
	v_sub_u32_e32 v11, 0x3f1, v9
	v_or_b32_e32 v7, 0x1000, v3
	v_med3_i32 v11, v11, 0, 13
	v_lshrrev_b32_e32 v12, v11, v7
	v_lshlrev_b32_e32 v11, v11, v12
	v_mul_f16_sdwa v0, v43, v0 dst_sel:DWORD dst_unused:UNUSED_PAD src0_sel:WORD_1 src1_sel:DWORD
	v_cmp_ne_u32_e32 vcc, v11, v7
	v_fma_f16 v0, v43, v14, -v0
	v_cndmask_b32_e64 v7, 0, 1, vcc
	v_add_u32_e32 v9, 0xfffffc10, v9
	v_cvt_f32_f16_e32 v0, v0
	v_or_b32_e32 v7, v12, v7
	v_lshl_or_b32 v11, v9, 12, v3
	v_cmp_gt_i32_e32 vcc, 1, v9
	v_cndmask_b32_e32 v7, v11, v7, vcc
	v_and_b32_e32 v11, 7, v7
	v_cmp_lt_i32_e32 vcc, 5, v11
	v_cmp_eq_u32_e64 s[2:3], 3, v11
	v_cvt_f64_f32_e32 v[11:12], v0
	v_lshrrev_b32_e32 v7, 2, v7
	s_or_b64 vcc, s[2:3], vcc
	v_addc_co_u32_e32 v0, vcc, 0, v7, vcc
	v_mul_f64 v[11:12], v[11:12], s[6:7]
	v_cmp_gt_i32_e32 vcc, 31, v9
	v_cndmask_b32_e32 v0, v2, v0, vcc
	v_cmp_ne_u32_e32 vcc, 0, v3
	v_cndmask_b32_e64 v3, 0, 1, vcc
	v_lshl_or_b32 v3, v3, 9, v2
	v_cmp_eq_u32_e32 vcc, s16, v9
	v_cndmask_b32_e32 v0, v0, v3, vcc
	v_lshrrev_b32_e32 v3, 16, v10
	v_and_or_b32 v0, v3, s17, v0
	v_and_or_b32 v3, v12, s14, v11
	v_cmp_ne_u32_e32 vcc, 0, v3
	v_cndmask_b32_e64 v3, 0, 1, vcc
	v_lshrrev_b32_e32 v7, 8, v12
	v_bfe_u32 v9, v12, 20, 11
	v_and_or_b32 v3, v7, s15, v3
	v_sub_u32_e32 v10, 0x3f1, v9
	v_or_b32_e32 v7, 0x1000, v3
	v_med3_i32 v10, v10, 0, 13
	v_lshrrev_b32_e32 v11, v10, v7
	v_lshlrev_b32_e32 v10, v10, v11
	v_cmp_ne_u32_e32 vcc, v10, v7
	v_cndmask_b32_e64 v7, 0, 1, vcc
	v_or_b32_e32 v7, v11, v7
	v_add_u32_e32 v11, 0xfffffc10, v9
	v_lshl_or_b32 v9, v11, 12, v3
	v_cmp_gt_i32_e32 vcc, 1, v11
	v_cndmask_b32_e32 v7, v9, v7, vcc
	v_and_b32_e32 v9, 7, v7
	v_lshrrev_b32_e32 v13, 16, v8
	v_cmp_lt_i32_e32 vcc, 5, v9
	v_cmp_eq_u32_e64 s[2:3], 3, v9
	v_mul_f16_sdwa v9, v42, v13 dst_sel:DWORD dst_unused:UNUSED_PAD src0_sel:WORD_1 src1_sel:DWORD
	v_fma_f16 v9, v42, v8, v9
	v_cvt_f32_f16_e32 v9, v9
	v_lshrrev_b32_e32 v7, 2, v7
	s_or_b64 vcc, s[2:3], vcc
	v_addc_co_u32_e32 v7, vcc, 0, v7, vcc
	v_cvt_f64_f32_e32 v[9:10], v9
	v_cmp_gt_i32_e32 vcc, 31, v11
	v_cndmask_b32_e32 v7, v2, v7, vcc
	v_cmp_ne_u32_e32 vcc, 0, v3
	v_mul_f64 v[9:10], v[9:10], s[6:7]
	v_cndmask_b32_e64 v3, 0, 1, vcc
	v_lshl_or_b32 v3, v3, 9, v2
	v_cmp_eq_u32_e32 vcc, s16, v11
	v_cndmask_b32_e32 v3, v7, v3, vcc
	v_lshrrev_b32_e32 v7, 16, v12
	v_and_or_b32 v3, v7, s17, v3
	v_and_b32_e32 v0, 0xffff, v0
	v_lshl_or_b32 v0, v3, 16, v0
	v_add_co_u32_e32 v3, vcc, s4, v5
	v_addc_co_u32_e32 v4, vcc, v6, v4, vcc
	global_store_dword v[3:4], v0, off
	v_and_or_b32 v0, v10, s14, v9
	v_cmp_ne_u32_e32 vcc, 0, v0
	v_cndmask_b32_e64 v0, 0, 1, vcc
	v_lshrrev_b32_e32 v5, 8, v10
	v_bfe_u32 v6, v10, 20, 11
	v_and_or_b32 v0, v5, s15, v0
	v_sub_u32_e32 v7, 0x3f1, v6
	v_or_b32_e32 v5, 0x1000, v0
	v_med3_i32 v7, v7, 0, 13
	v_lshrrev_b32_e32 v9, v7, v5
	v_lshlrev_b32_e32 v7, v7, v9
	v_mul_f16_sdwa v8, v42, v8 dst_sel:DWORD dst_unused:UNUSED_PAD src0_sel:WORD_1 src1_sel:DWORD
	v_cmp_ne_u32_e32 vcc, v7, v5
	v_fma_f16 v8, v42, v13, -v8
	v_cndmask_b32_e64 v5, 0, 1, vcc
	v_add_u32_e32 v7, 0xfffffc10, v6
	v_cvt_f32_f16_e32 v8, v8
	v_or_b32_e32 v5, v9, v5
	v_lshl_or_b32 v6, v7, 12, v0
	v_cmp_gt_i32_e32 vcc, 1, v7
	v_cndmask_b32_e32 v5, v6, v5, vcc
	v_and_b32_e32 v6, 7, v5
	v_cmp_lt_i32_e32 vcc, 5, v6
	v_cmp_eq_u32_e64 s[2:3], 3, v6
	v_lshrrev_b32_e32 v9, 2, v5
	v_cvt_f64_f32_e32 v[5:6], v8
	s_or_b64 vcc, s[2:3], vcc
	v_addc_co_u32_e32 v8, vcc, 0, v9, vcc
	v_mul_f64 v[5:6], v[5:6], s[6:7]
	v_cmp_gt_i32_e32 vcc, 31, v7
	v_cndmask_b32_e32 v8, v2, v8, vcc
	v_cmp_ne_u32_e32 vcc, 0, v0
	v_cndmask_b32_e64 v0, 0, 1, vcc
	v_lshl_or_b32 v0, v0, 9, v2
	v_cmp_eq_u32_e32 vcc, s16, v7
	v_cndmask_b32_e32 v0, v8, v0, vcc
	v_and_or_b32 v5, v6, s14, v5
	v_lshrrev_b32_e32 v7, 16, v10
	v_cmp_ne_u32_e32 vcc, 0, v5
	v_and_or_b32 v0, v7, s17, v0
	v_cndmask_b32_e64 v5, 0, 1, vcc
	v_lshrrev_b32_e32 v7, 8, v6
	v_bfe_u32 v8, v6, 20, 11
	v_and_or_b32 v5, v7, s15, v5
	v_sub_u32_e32 v9, 0x3f1, v8
	v_or_b32_e32 v7, 0x1000, v5
	v_med3_i32 v9, v9, 0, 13
	v_lshrrev_b32_e32 v10, v9, v7
	v_lshlrev_b32_e32 v9, v9, v10
	v_cmp_ne_u32_e32 vcc, v9, v7
	v_cndmask_b32_e64 v7, 0, 1, vcc
	v_add_u32_e32 v8, 0xfffffc10, v8
	v_or_b32_e32 v7, v10, v7
	v_lshl_or_b32 v9, v8, 12, v5
	v_cmp_gt_i32_e32 vcc, 1, v8
	v_cndmask_b32_e32 v7, v9, v7, vcc
	v_and_b32_e32 v9, 7, v7
	v_cmp_lt_i32_e32 vcc, 5, v9
	v_cmp_eq_u32_e64 s[2:3], 3, v9
	v_lshrrev_b32_e32 v7, 2, v7
	s_or_b64 vcc, s[2:3], vcc
	v_addc_co_u32_e32 v7, vcc, 0, v7, vcc
	v_cmp_gt_i32_e32 vcc, 31, v8
	v_cndmask_b32_e32 v7, v2, v7, vcc
	v_cmp_ne_u32_e32 vcc, 0, v5
	v_cndmask_b32_e64 v5, 0, 1, vcc
	v_lshl_or_b32 v5, v5, 9, v2
	v_cmp_eq_u32_e32 vcc, s16, v8
	v_cndmask_b32_e32 v5, v7, v5, vcc
	v_lshrrev_b32_e32 v6, 16, v6
	v_and_or_b32 v5, v6, s17, v5
	v_and_b32_e32 v0, 0xffff, v0
	v_lshl_or_b32 v5, v5, 16, v0
	v_add_co_u32_e32 v0, vcc, s10, v3
	v_addc_co_u32_e32 v1, vcc, v4, v1, vcc
	global_store_dword v[0:1], v5, off
	s_and_b64 exec, exec, s[0:1]
	s_cbranch_execz .LBB0_23
; %bb.22:
	global_load_dword v5, v[20:21], off offset:2200
	v_add_co_u32_e32 v3, vcc, s18, v20
	v_addc_co_u32_e32 v4, vcc, 0, v21, vcc
	global_load_dword v9, v[3:4], off offset:524
	ds_read_b32 v3, v41 offset:2200
	ds_read_b32 v10, v41 offset:4620
	v_mov_b32_e32 v12, s5
	v_add_co_u32_e32 v0, vcc, s4, v0
	s_waitcnt lgkmcnt(1)
	v_lshrrev_b32_e32 v4, 16, v3
	s_waitcnt lgkmcnt(0)
	v_lshrrev_b32_e32 v11, 16, v10
	v_addc_co_u32_e32 v1, vcc, v1, v12, vcc
	s_waitcnt vmcnt(1)
	v_mul_f16_sdwa v6, v4, v5 dst_sel:DWORD dst_unused:UNUSED_PAD src0_sel:DWORD src1_sel:WORD_1
	v_mul_f16_sdwa v7, v3, v5 dst_sel:DWORD dst_unused:UNUSED_PAD src0_sel:DWORD src1_sel:WORD_1
	v_fma_f16 v3, v3, v5, v6
	v_fma_f16 v4, v5, v4, -v7
	v_cvt_f32_f16_e32 v3, v3
	s_waitcnt vmcnt(0)
	v_mul_f16_sdwa v5, v11, v9 dst_sel:DWORD dst_unused:UNUSED_PAD src0_sel:DWORD src1_sel:WORD_1
	v_cvt_f32_f16_e32 v6, v4
	v_fma_f16 v5, v10, v9, v5
	v_cvt_f32_f16_e32 v7, v5
	v_cvt_f64_f32_e32 v[3:4], v3
	v_cvt_f64_f32_e32 v[5:6], v6
	;; [unrolled: 1-line block ×3, first 2 shown]
	v_mul_f64 v[3:4], v[3:4], s[6:7]
	v_mul_f64 v[5:6], v[5:6], s[6:7]
	;; [unrolled: 1-line block ×3, first 2 shown]
	v_and_or_b32 v3, v4, s14, v3
	v_and_or_b32 v5, v6, s14, v5
	v_cmp_ne_u32_e32 vcc, 0, v3
	v_lshrrev_b32_e32 v12, 8, v4
	v_bfe_u32 v13, v4, 20, 11
	v_bfe_u32 v15, v6, 20, 11
	v_cndmask_b32_e64 v3, 0, 1, vcc
	v_cmp_ne_u32_e32 vcc, 0, v5
	v_and_or_b32 v7, v8, s14, v7
	v_lshrrev_b32_e32 v14, 8, v6
	v_sub_u32_e32 v16, 0x3f1, v13
	v_cndmask_b32_e64 v5, 0, 1, vcc
	v_sub_u32_e32 v17, 0x3f1, v15
	v_bfe_u32 v19, v8, 20, 11
	v_and_or_b32 v3, v12, s15, v3
	v_cmp_ne_u32_e32 vcc, 0, v7
	v_lshrrev_b32_e32 v18, 8, v8
	v_med3_i32 v12, v16, 0, 13
	v_and_or_b32 v5, v14, s15, v5
	v_med3_i32 v14, v17, 0, 13
	v_cndmask_b32_e64 v7, 0, 1, vcc
	v_sub_u32_e32 v16, 0x3f1, v19
	v_add_u32_e32 v17, 0xfffffc10, v19
	v_or_b32_e32 v19, 0x1000, v3
	v_add_u32_e32 v13, 0xfffffc10, v13
	v_cmp_ne_u32_e32 vcc, 0, v3
	v_or_b32_e32 v21, 0x1000, v5
	v_and_or_b32 v7, v18, s15, v7
	v_lshrrev_b32_e32 v18, v12, v19
	v_add_u32_e32 v15, 0xfffffc10, v15
	v_lshl_or_b32 v20, v13, 12, v3
	v_cndmask_b32_e64 v3, 0, 1, vcc
	v_cmp_ne_u32_e32 vcc, 0, v5
	v_med3_i32 v16, v16, 0, 13
	v_lshrrev_b32_e32 v23, v14, v21
	v_or_b32_e32 v24, 0x1000, v7
	v_lshlrev_b32_e32 v12, v12, v18
	v_lshl_or_b32 v22, v15, 12, v5
	v_cndmask_b32_e64 v5, 0, 1, vcc
	v_lshlrev_b32_e32 v14, v14, v23
	v_lshrrev_b32_e32 v25, v16, v24
	v_cmp_ne_u32_e32 vcc, v12, v19
	v_cndmask_b32_e64 v12, 0, 1, vcc
	v_cmp_ne_u32_e32 vcc, v14, v21
	v_lshlrev_b32_e32 v16, v16, v25
	v_cndmask_b32_e64 v14, 0, 1, vcc
	v_cmp_ne_u32_e32 vcc, v16, v24
	v_or_b32_e32 v12, v18, v12
	v_cndmask_b32_e64 v16, 0, 1, vcc
	v_cmp_gt_i32_e32 vcc, 1, v13
	v_cndmask_b32_e32 v12, v20, v12, vcc
	v_or_b32_e32 v14, v23, v14
	v_cmp_gt_i32_e32 vcc, 1, v15
	v_and_b32_e32 v18, 7, v12
	v_cndmask_b32_e32 v14, v22, v14, vcc
	v_cmp_lt_i32_e32 vcc, 5, v18
	v_cmp_eq_u32_e64 s[0:1], 3, v18
	v_lshrrev_b32_e32 v12, 2, v12
	v_and_b32_e32 v19, 7, v14
	s_or_b64 vcc, s[0:1], vcc
	v_cmp_lt_i32_e64 s[2:3], 5, v19
	v_cmp_eq_u32_e64 s[4:5], 3, v19
	v_addc_co_u32_e32 v12, vcc, 0, v12, vcc
	v_lshrrev_b32_e32 v14, 2, v14
	s_or_b64 vcc, s[4:5], s[2:3]
	v_addc_co_u32_e32 v14, vcc, 0, v14, vcc
	v_cmp_gt_i32_e32 vcc, 31, v13
	v_cndmask_b32_e32 v12, v2, v12, vcc
	v_cmp_gt_i32_e32 vcc, 31, v15
	v_lshl_or_b32 v3, v3, 9, v2
	v_cndmask_b32_e32 v14, v2, v14, vcc
	v_cmp_eq_u32_e32 vcc, s16, v13
	v_lshl_or_b32 v5, v5, 9, v2
	v_cndmask_b32_e32 v3, v12, v3, vcc
	v_cmp_eq_u32_e32 vcc, s16, v15
	v_lshrrev_b32_e32 v4, 16, v4
	v_lshrrev_b32_e32 v6, 16, v6
	v_cndmask_b32_e32 v5, v14, v5, vcc
	v_and_or_b32 v3, v4, s17, v3
	v_and_or_b32 v4, v6, s17, v5
	v_mul_f16_sdwa v5, v10, v9 dst_sel:DWORD dst_unused:UNUSED_PAD src0_sel:DWORD src1_sel:WORD_1
	v_and_b32_e32 v3, 0xffff, v3
	v_fma_f16 v5, v9, v11, -v5
	v_lshl_or_b32 v3, v4, 16, v3
	v_cvt_f32_f16_e32 v5, v5
	v_or_b32_e32 v16, v25, v16
	global_store_dword v[0:1], v3, off
	v_lshl_or_b32 v3, v17, 12, v7
	v_cmp_gt_i32_e32 vcc, 1, v17
	v_cndmask_b32_e32 v3, v3, v16, vcc
	v_and_b32_e32 v4, 7, v3
	v_cmp_lt_i32_e32 vcc, 5, v4
	v_cmp_eq_u32_e64 s[0:1], 3, v4
	v_lshrrev_b32_e32 v6, 2, v3
	v_cvt_f64_f32_e32 v[3:4], v5
	s_or_b64 vcc, s[0:1], vcc
	v_addc_co_u32_e32 v5, vcc, 0, v6, vcc
	v_mul_f64 v[3:4], v[3:4], s[6:7]
	v_cmp_gt_i32_e32 vcc, 31, v17
	v_cndmask_b32_e32 v5, v2, v5, vcc
	v_cmp_ne_u32_e32 vcc, 0, v7
	v_cndmask_b32_e64 v6, 0, 1, vcc
	v_lshl_or_b32 v6, v6, 9, v2
	v_cmp_eq_u32_e32 vcc, s16, v17
	v_cndmask_b32_e32 v5, v5, v6, vcc
	v_and_or_b32 v3, v4, s14, v3
	v_lshrrev_b32_e32 v6, 16, v8
	v_cmp_ne_u32_e32 vcc, 0, v3
	v_and_or_b32 v5, v6, s17, v5
	v_cndmask_b32_e64 v3, 0, 1, vcc
	v_lshrrev_b32_e32 v6, 8, v4
	v_bfe_u32 v7, v4, 20, 11
	v_and_or_b32 v3, v6, s15, v3
	v_sub_u32_e32 v8, 0x3f1, v7
	v_or_b32_e32 v6, 0x1000, v3
	v_med3_i32 v8, v8, 0, 13
	v_lshrrev_b32_e32 v9, v8, v6
	v_lshlrev_b32_e32 v8, v8, v9
	v_cmp_ne_u32_e32 vcc, v8, v6
	v_cndmask_b32_e64 v6, 0, 1, vcc
	v_add_u32_e32 v7, 0xfffffc10, v7
	v_or_b32_e32 v6, v9, v6
	v_lshl_or_b32 v8, v7, 12, v3
	v_cmp_gt_i32_e32 vcc, 1, v7
	v_cndmask_b32_e32 v6, v8, v6, vcc
	v_and_b32_e32 v8, 7, v6
	v_cmp_lt_i32_e32 vcc, 5, v8
	v_cmp_eq_u32_e64 s[0:1], 3, v8
	v_lshrrev_b32_e32 v6, 2, v6
	s_or_b64 vcc, s[0:1], vcc
	v_addc_co_u32_e32 v6, vcc, 0, v6, vcc
	v_cmp_gt_i32_e32 vcc, 31, v7
	v_cndmask_b32_e32 v6, v2, v6, vcc
	v_cmp_ne_u32_e32 vcc, 0, v3
	v_cndmask_b32_e64 v3, 0, 1, vcc
	v_lshl_or_b32 v2, v3, 9, v2
	v_cmp_eq_u32_e32 vcc, s16, v7
	v_cndmask_b32_e32 v2, v6, v2, vcc
	v_lshrrev_b32_e32 v3, 16, v4
	v_and_or_b32 v2, v3, s17, v2
	v_and_b32_e32 v3, 0xffff, v5
	v_lshl_or_b32 v2, v2, 16, v3
	v_mov_b32_e32 v3, s11
	v_add_co_u32_e32 v0, vcc, s10, v0
	v_addc_co_u32_e32 v1, vcc, v1, v3, vcc
	global_store_dword v[0:1], v2, off
.LBB0_23:
	s_endpgm
	.section	.rodata,"a",@progbits
	.p2align	6, 0x0
	.amdhsa_kernel bluestein_single_back_len1210_dim1_half_op_CI_CI
		.amdhsa_group_segment_fixed_size 4840
		.amdhsa_private_segment_fixed_size 0
		.amdhsa_kernarg_size 104
		.amdhsa_user_sgpr_count 6
		.amdhsa_user_sgpr_private_segment_buffer 1
		.amdhsa_user_sgpr_dispatch_ptr 0
		.amdhsa_user_sgpr_queue_ptr 0
		.amdhsa_user_sgpr_kernarg_segment_ptr 1
		.amdhsa_user_sgpr_dispatch_id 0
		.amdhsa_user_sgpr_flat_scratch_init 0
		.amdhsa_user_sgpr_private_segment_size 0
		.amdhsa_uses_dynamic_stack 0
		.amdhsa_system_sgpr_private_segment_wavefront_offset 0
		.amdhsa_system_sgpr_workgroup_id_x 1
		.amdhsa_system_sgpr_workgroup_id_y 0
		.amdhsa_system_sgpr_workgroup_id_z 0
		.amdhsa_system_sgpr_workgroup_info 0
		.amdhsa_system_vgpr_workitem_id 0
		.amdhsa_next_free_vgpr 103
		.amdhsa_next_free_sgpr 23
		.amdhsa_reserve_vcc 1
		.amdhsa_reserve_flat_scratch 0
		.amdhsa_float_round_mode_32 0
		.amdhsa_float_round_mode_16_64 0
		.amdhsa_float_denorm_mode_32 3
		.amdhsa_float_denorm_mode_16_64 3
		.amdhsa_dx10_clamp 1
		.amdhsa_ieee_mode 1
		.amdhsa_fp16_overflow 0
		.amdhsa_exception_fp_ieee_invalid_op 0
		.amdhsa_exception_fp_denorm_src 0
		.amdhsa_exception_fp_ieee_div_zero 0
		.amdhsa_exception_fp_ieee_overflow 0
		.amdhsa_exception_fp_ieee_underflow 0
		.amdhsa_exception_fp_ieee_inexact 0
		.amdhsa_exception_int_div_zero 0
	.end_amdhsa_kernel
	.text
.Lfunc_end0:
	.size	bluestein_single_back_len1210_dim1_half_op_CI_CI, .Lfunc_end0-bluestein_single_back_len1210_dim1_half_op_CI_CI
                                        ; -- End function
	.section	.AMDGPU.csdata,"",@progbits
; Kernel info:
; codeLenInByte = 22544
; NumSgprs: 27
; NumVgprs: 103
; ScratchSize: 0
; MemoryBound: 0
; FloatMode: 240
; IeeeMode: 1
; LDSByteSize: 4840 bytes/workgroup (compile time only)
; SGPRBlocks: 3
; VGPRBlocks: 25
; NumSGPRsForWavesPerEU: 27
; NumVGPRsForWavesPerEU: 103
; Occupancy: 2
; WaveLimiterHint : 1
; COMPUTE_PGM_RSRC2:SCRATCH_EN: 0
; COMPUTE_PGM_RSRC2:USER_SGPR: 6
; COMPUTE_PGM_RSRC2:TRAP_HANDLER: 0
; COMPUTE_PGM_RSRC2:TGID_X_EN: 1
; COMPUTE_PGM_RSRC2:TGID_Y_EN: 0
; COMPUTE_PGM_RSRC2:TGID_Z_EN: 0
; COMPUTE_PGM_RSRC2:TIDIG_COMP_CNT: 0
	.type	__hip_cuid_cb637d3852a77516,@object ; @__hip_cuid_cb637d3852a77516
	.section	.bss,"aw",@nobits
	.globl	__hip_cuid_cb637d3852a77516
__hip_cuid_cb637d3852a77516:
	.byte	0                               ; 0x0
	.size	__hip_cuid_cb637d3852a77516, 1

	.ident	"AMD clang version 19.0.0git (https://github.com/RadeonOpenCompute/llvm-project roc-6.4.0 25133 c7fe45cf4b819c5991fe208aaa96edf142730f1d)"
	.section	".note.GNU-stack","",@progbits
	.addrsig
	.addrsig_sym __hip_cuid_cb637d3852a77516
	.amdgpu_metadata
---
amdhsa.kernels:
  - .args:
      - .actual_access:  read_only
        .address_space:  global
        .offset:         0
        .size:           8
        .value_kind:     global_buffer
      - .actual_access:  read_only
        .address_space:  global
        .offset:         8
        .size:           8
        .value_kind:     global_buffer
      - .actual_access:  read_only
        .address_space:  global
        .offset:         16
        .size:           8
        .value_kind:     global_buffer
      - .actual_access:  read_only
        .address_space:  global
        .offset:         24
        .size:           8
        .value_kind:     global_buffer
      - .actual_access:  read_only
        .address_space:  global
        .offset:         32
        .size:           8
        .value_kind:     global_buffer
      - .offset:         40
        .size:           8
        .value_kind:     by_value
      - .address_space:  global
        .offset:         48
        .size:           8
        .value_kind:     global_buffer
      - .address_space:  global
        .offset:         56
        .size:           8
        .value_kind:     global_buffer
      - .address_space:  global
        .offset:         64
        .size:           8
        .value_kind:     global_buffer
      - .address_space:  global
        .offset:         72
        .size:           8
        .value_kind:     global_buffer
      - .offset:         80
        .size:           4
        .value_kind:     by_value
      - .address_space:  global
        .offset:         88
        .size:           8
        .value_kind:     global_buffer
      - .address_space:  global
        .offset:         96
        .size:           8
        .value_kind:     global_buffer
    .group_segment_fixed_size: 4840
    .kernarg_segment_align: 8
    .kernarg_segment_size: 104
    .language:       OpenCL C
    .language_version:
      - 2
      - 0
    .max_flat_workgroup_size: 110
    .name:           bluestein_single_back_len1210_dim1_half_op_CI_CI
    .private_segment_fixed_size: 0
    .sgpr_count:     27
    .sgpr_spill_count: 0
    .symbol:         bluestein_single_back_len1210_dim1_half_op_CI_CI.kd
    .uniform_work_group_size: 1
    .uses_dynamic_stack: false
    .vgpr_count:     103
    .vgpr_spill_count: 0
    .wavefront_size: 64
amdhsa.target:   amdgcn-amd-amdhsa--gfx906
amdhsa.version:
  - 1
  - 2
...

	.end_amdgpu_metadata
